;; amdgpu-corpus repo=ROCm/rocFFT kind=compiled arch=gfx1201 opt=O3
	.text
	.amdgcn_target "amdgcn-amd-amdhsa--gfx1201"
	.amdhsa_code_object_version 6
	.protected	bluestein_single_back_len1760_dim1_sp_op_CI_CI ; -- Begin function bluestein_single_back_len1760_dim1_sp_op_CI_CI
	.globl	bluestein_single_back_len1760_dim1_sp_op_CI_CI
	.p2align	8
	.type	bluestein_single_back_len1760_dim1_sp_op_CI_CI,@function
bluestein_single_back_len1760_dim1_sp_op_CI_CI: ; @bluestein_single_back_len1760_dim1_sp_op_CI_CI
; %bb.0:
	s_load_b128 s[12:15], s[0:1], 0x28
	v_mul_u32_u24_e32 v1, 0x175, v0
	s_mov_b32 s2, exec_lo
	v_mov_b32_e32 v57, 0
	s_delay_alu instid0(VALU_DEP_2) | instskip(NEXT) | instid1(VALU_DEP_1)
	v_lshrrev_b32_e32 v1, 16, v1
	v_add_nc_u32_e32 v56, ttmp9, v1
	s_wait_kmcnt 0x0
	s_delay_alu instid0(VALU_DEP_1)
	v_cmpx_gt_u64_e64 s[12:13], v[56:57]
	s_cbranch_execz .LBB0_10
; %bb.1:
	s_clause 0x1
	s_load_b128 s[4:7], s[0:1], 0x18
	s_load_b128 s[8:11], s[0:1], 0x0
	v_mul_lo_u16 v1, 0xb0, v1
	s_movk_i32 s2, 0xea00
	s_mov_b32 s3, -1
	s_load_b64 s[0:1], s[0:1], 0x38
                                        ; implicit-def: $vgpr50
	s_delay_alu instid0(VALU_DEP_1) | instskip(NEXT) | instid1(VALU_DEP_1)
	v_sub_nc_u16 v0, v0, v1
	v_and_b32_e32 v79, 0xffff, v0
	s_wait_kmcnt 0x0
	s_load_b128 s[16:19], s[4:5], 0x0
	s_wait_kmcnt 0x0
	v_mad_co_u64_u32 v[1:2], null, s18, v56, 0
	v_mad_co_u64_u32 v[3:4], null, s16, v79, 0
	s_mul_u64 s[4:5], s[16:17], 0x1b80
	s_mul_u64 s[2:3], s[16:17], s[2:3]
	s_delay_alu instid0(VALU_DEP_1) | instskip(NEXT) | instid1(VALU_DEP_1)
	v_mad_co_u64_u32 v[5:6], null, s19, v56, v[2:3]
	v_mov_b32_e32 v2, v5
	s_delay_alu instid0(VALU_DEP_3)
	v_mad_co_u64_u32 v[6:7], null, s17, v79, v[4:5]
	v_lshlrev_b32_e32 v80, 3, v79
	s_clause 0x2
	global_load_b64 v[71:72], v80, s[8:9] offset:7040
	global_load_b64 v[57:58], v80, s[8:9] offset:8448
	;; [unrolled: 1-line block ×3, first 2 shown]
	v_mov_b32_e32 v4, v6
	v_lshlrev_b64_e32 v[1:2], 3, v[1:2]
	s_clause 0x4
	global_load_b64 v[75:76], v80, s[8:9]
	global_load_b64 v[67:68], v80, s[8:9] offset:1408
	global_load_b64 v[65:66], v80, s[8:9] offset:2816
	;; [unrolled: 1-line block ×4, first 2 shown]
	v_add_co_u32 v101, null, 0xb0, v79
	v_lshlrev_b64_e32 v[3:4], 3, v[3:4]
	v_add_co_u32 v1, vcc_lo, s14, v1
	v_add_co_ci_u32_e32 v2, vcc_lo, s15, v2, vcc_lo
	v_lshlrev_b32_e32 v53, 4, v79
	s_delay_alu instid0(VALU_DEP_3) | instskip(SKIP_1) | instid1(VALU_DEP_3)
	v_add_co_u32 v1, vcc_lo, v1, v3
	s_wait_alu 0xfffd
	v_add_co_ci_u32_e32 v2, vcc_lo, v2, v4, vcc_lo
	v_and_b32_e32 v36, 1, v79
	s_delay_alu instid0(VALU_DEP_3) | instskip(SKIP_1) | instid1(VALU_DEP_3)
	v_add_co_u32 v3, vcc_lo, v1, s4
	s_wait_alu 0xfffd
	v_add_co_ci_u32_e32 v4, vcc_lo, s5, v2, vcc_lo
	s_clause 0x1
	global_load_b64 v[9:10], v[1:2], off
	global_load_b64 v[11:12], v[3:4], off
	v_add_co_u32 v5, vcc_lo, v3, s2
	s_wait_alu 0xfffd
	v_add_co_ci_u32_e32 v6, vcc_lo, s3, v4, vcc_lo
	v_lshlrev_b32_e32 v52, 4, v101
	s_delay_alu instid0(VALU_DEP_3) | instskip(SKIP_1) | instid1(VALU_DEP_3)
	v_add_co_u32 v7, vcc_lo, v5, s4
	s_wait_alu 0xfffd
	v_add_co_ci_u32_e32 v8, vcc_lo, s5, v6, vcc_lo
	v_lshlrev_b32_e32 v38, 3, v36
	s_delay_alu instid0(VALU_DEP_3) | instskip(SKIP_1) | instid1(VALU_DEP_3)
	v_add_co_u32 v1, vcc_lo, v7, s2
	s_wait_alu 0xfffd
	v_add_co_ci_u32_e32 v2, vcc_lo, s3, v8, vcc_lo
	s_clause 0x1
	global_load_b64 v[5:6], v[5:6], off
	global_load_b64 v[7:8], v[7:8], off
	v_add_co_u32 v3, vcc_lo, v1, s4
	s_wait_alu 0xfffd
	v_add_co_ci_u32_e32 v4, vcc_lo, s5, v2, vcc_lo
	global_load_b64 v[13:14], v[1:2], off
	v_add_co_u32 v1, vcc_lo, v3, s2
	s_wait_alu 0xfffd
	v_add_co_ci_u32_e32 v2, vcc_lo, s3, v4, vcc_lo
	;; [unrolled: 4-line block ×5, first 2 shown]
	v_cmp_gt_u16_e32 vcc_lo, 0xa0, v0
	s_wait_loadcnt 0x7
	v_mul_f32_e32 v28, v9, v76
	s_wait_loadcnt 0x6
	v_mul_f32_e32 v25, v12, v72
	global_load_b64 v[69:70], v80, s[8:9] offset:5632
	global_load_b64 v[21:22], v[1:2], off
	global_load_b64 v[73:74], v80, s[8:9] offset:12672
	global_load_b64 v[23:24], v[3:4], off
	v_add_nc_u32_e32 v2, 0xa00, v80
	v_mul_f32_e32 v26, v11, v72
	v_mul_f32_e32 v27, v10, v76
	v_fmac_f32_e32 v25, v11, v71
	v_fma_f32 v28, v10, v75, -v28
	v_add_nc_u32_e32 v1, 0x1400, v80
	v_add_nc_u32_e32 v3, 0x2000, v80
	s_load_b128 s[4:7], s[6:7], 0x0
	v_add_co_u32 v48, s2, s8, v80
	s_wait_alu 0xf1ff
	v_add_co_ci_u32_e64 v49, null, s9, 0, s2
	s_wait_loadcnt 0x9
	v_mul_f32_e32 v11, v6, v68
	v_mul_f32_e32 v10, v5, v68
	s_delay_alu instid0(VALU_DEP_2)
	v_fmac_f32_e32 v11, v5, v67
	v_fma_f32 v26, v12, v71, -v26
	s_wait_loadcnt 0x8
	v_mul_f32_e32 v5, v8, v58
	ds_store_b64 v80, v[25:26] offset:7040
	v_mul_f32_e32 v25, v7, v58
	v_fma_f32 v12, v6, v67, -v10
	s_wait_loadcnt 0x7
	v_dual_mul_f32 v10, v13, v66 :: v_dual_fmac_f32 v5, v7, v57
	s_wait_loadcnt 0x6
	v_mul_f32_e32 v7, v16, v62
	v_fma_f32 v6, v8, v57, -v25
	v_mul_f32_e32 v8, v15, v62
	v_dual_fmac_f32 v27, v9, v75 :: v_dual_add_nc_u32 v4, 0x2c00, v80
	v_mul_f32_e32 v9, v14, v66
	v_fma_f32 v10, v14, v65, -v10
	s_wait_loadcnt 0x5
	v_dual_mul_f32 v14, v17, v64 :: v_dual_fmac_f32 v7, v15, v61
	s_wait_loadcnt 0x4
	v_mul_f32_e32 v15, v20, v60
	v_fmac_f32_e32 v9, v13, v65
	v_mul_f32_e32 v13, v18, v64
	v_fma_f32 v14, v18, v63, -v14
	v_fma_f32 v8, v16, v61, -v8
	v_mul_f32_e32 v16, v19, v60
	v_fmac_f32_e32 v15, v19, v59
	v_fmac_f32_e32 v13, v17, v63
	s_delay_alu instid0(VALU_DEP_3)
	v_fma_f32 v16, v20, v59, -v16
	s_wait_loadcnt 0x2
	v_mul_f32_e32 v17, v22, v70
	v_mul_f32_e32 v18, v21, v70
	s_wait_loadcnt 0x0
	v_mul_f32_e32 v19, v24, v74
	v_mul_f32_e32 v25, v23, v74
	v_fmac_f32_e32 v17, v21, v69
	v_fma_f32 v18, v22, v69, -v18
	s_delay_alu instid0(VALU_DEP_4) | instskip(NEXT) | instid1(VALU_DEP_4)
	v_fmac_f32_e32 v19, v23, v73
	v_fma_f32 v20, v24, v73, -v25
	ds_store_2addr_b64 v80, v[27:28], v[11:12] offset1:176
	ds_store_2addr_b64 v3, v[5:6], v[7:8] offset0:32 offset1:208
	ds_store_2addr_b64 v2, v[9:10], v[13:14] offset0:32 offset1:208
	ds_store_b64 v80, v[17:18] offset:5632
	ds_store_2addr_b64 v4, v[15:16], v[19:20] offset1:176
	global_wb scope:SCOPE_SE
	s_wait_dscnt 0x0
	s_wait_kmcnt 0x0
	s_barrier_signal -1
	s_barrier_wait -1
	global_inv scope:SCOPE_SE
	ds_load_2addr_b64 v[6:9], v80 offset1:176
	ds_load_2addr_b64 v[10:13], v1 offset0:64 offset1:240
	ds_load_2addr_b64 v[14:17], v3 offset0:32 offset1:208
	;; [unrolled: 1-line block ×3, first 2 shown]
	ds_load_2addr_b64 v[22:25], v4 offset1:176
	v_lshlrev_b32_e32 v5, 1, v79
	global_wb scope:SCOPE_SE
	s_wait_dscnt 0x0
	s_barrier_signal -1
	s_barrier_wait -1
	global_inv scope:SCOPE_SE
	v_dual_sub_f32 v26, v6, v12 :: v_dual_lshlrev_b32 v37, 3, v5
	v_dual_sub_f32 v27, v7, v13 :: v_dual_sub_f32 v14, v8, v14
	v_dual_sub_f32 v15, v9, v15 :: v_dual_sub_f32 v30, v18, v16
	;; [unrolled: 1-line block ×4, first 2 shown]
	v_sub_f32_e32 v35, v11, v25
	v_fma_f32 v24, v6, 2.0, -v26
	v_fma_f32 v25, v7, 2.0, -v27
	;; [unrolled: 1-line block ×10, first 2 shown]
	ds_store_b128 v53, v[24:27]
	ds_store_b128 v52, v[12:15]
	ds_store_b128 v37, v[28:31] offset:5632
	ds_store_b128 v37, v[20:23] offset:8448
	;; [unrolled: 1-line block ×3, first 2 shown]
	global_wb scope:SCOPE_SE
	s_wait_dscnt 0x0
	s_barrier_signal -1
	s_barrier_wait -1
	global_inv scope:SCOPE_SE
	global_load_b64 v[40:41], v38, s[10:11]
	ds_load_2addr_b64 v[7:10], v1 offset0:64 offset1:240
	ds_load_2addr_b64 v[11:14], v3 offset0:32 offset1:208
	ds_load_2addr_b64 v[15:18], v4 offset1:176
	v_lshlrev_b32_e32 v6, 1, v101
	v_and_b32_e32 v27, 3, v79
	s_delay_alu instid0(VALU_DEP_2) | instskip(NEXT) | instid1(VALU_DEP_1)
	v_and_or_b32 v20, 0x3fc, v6, v36
	v_lshlrev_b32_e32 v84, 3, v20
	s_wait_loadcnt_dscnt 0x1
	v_mul_f32_e32 v34, v13, v41
	v_mul_f32_e32 v30, v9, v41
	v_add_nc_u32_e32 v77, 0x2c0, v5
	v_add_nc_u32_e32 v78, 0x420, v5
	;; [unrolled: 1-line block ×3, first 2 shown]
	v_and_or_b32 v19, 0x1fc, v5, v36
	v_mul_f32_e32 v32, v11, v41
	v_and_or_b32 v21, 0x7fc, v77, v36
	v_and_or_b32 v22, 0x7fc, v78, v36
	;; [unrolled: 1-line block ×3, first 2 shown]
	s_wait_dscnt 0x0
	v_dual_mul_f32 v38, v17, v41 :: v_dual_lshlrev_b32 v85, 3, v19
	v_dual_fmac_f32 v32, v12, v40 :: v_dual_lshlrev_b32 v83, 3, v21
	v_lshlrev_b32_e32 v55, 3, v22
	v_lshlrev_b32_e32 v54, 3, v23
	ds_load_2addr_b64 v[19:22], v80 offset1:176
	ds_load_2addr_b64 v[23:26], v2 offset0:32 offset1:208
	v_mul_f32_e32 v36, v15, v41
	v_fmac_f32_e32 v30, v10, v40
	v_mul_f32_e32 v29, v10, v41
	v_fmac_f32_e32 v34, v14, v40
	s_delay_alu instid0(VALU_DEP_4)
	v_dual_mul_f32 v33, v14, v41 :: v_dual_fmac_f32 v36, v16, v40
	v_mul_f32_e32 v31, v12, v41
	v_dual_mul_f32 v35, v16, v41 :: v_dual_fmac_f32 v38, v18, v40
	v_dual_mul_f32 v37, v18, v41 :: v_dual_lshlrev_b32 v28, 3, v27
	global_wb scope:SCOPE_SE
	s_wait_dscnt 0x0
	v_fma_f32 v15, v15, v40, -v35
	v_sub_f32_e32 v18, v8, v38
	v_fma_f32 v17, v17, v40, -v37
	s_barrier_signal -1
	s_barrier_wait -1
	global_inv scope:SCOPE_SE
	v_sub_f32_e32 v10, v20, v30
	v_fma_f32 v9, v9, v40, -v29
	v_sub_f32_e32 v16, v26, v36
	v_fma_f32 v11, v11, v40, -v31
	;; [unrolled: 2-line block ×3, first 2 shown]
	v_dual_sub_f32 v9, v19, v9 :: v_dual_sub_f32 v12, v22, v32
	s_delay_alu instid0(VALU_DEP_4) | instskip(SKIP_1) | instid1(VALU_DEP_4)
	v_sub_f32_e32 v11, v21, v11
	v_sub_f32_e32 v15, v25, v15
	;; [unrolled: 1-line block ×4, first 2 shown]
	v_fma_f32 v19, v19, 2.0, -v9
	v_fma_f32 v20, v20, 2.0, -v10
	;; [unrolled: 1-line block ×10, first 2 shown]
	ds_store_2addr_b64 v85, v[19:20], v[9:10] offset1:2
	ds_store_2addr_b64 v84, v[21:22], v[11:12] offset1:2
	;; [unrolled: 1-line block ×5, first 2 shown]
	global_wb scope:SCOPE_SE
	s_wait_dscnt 0x0
	s_barrier_signal -1
	s_barrier_wait -1
	global_inv scope:SCOPE_SE
	global_load_b64 v[42:43], v28, s[10:11] offset:16
	ds_load_2addr_b64 v[7:10], v1 offset0:64 offset1:240
	ds_load_2addr_b64 v[11:14], v3 offset0:32 offset1:208
	v_and_or_b32 v19, 0x1f8, v5, v27
	v_and_or_b32 v20, 0x3f8, v6, v27
	v_and_or_b32 v21, 0x7f8, v77, v27
	v_and_or_b32 v22, 0x7f8, v78, v27
	v_and_or_b32 v23, 0x7f8, v82, v27
	ds_load_2addr_b64 v[15:18], v4 offset1:176
	v_lshlrev_b32_e32 v90, 3, v19
	v_lshlrev_b32_e32 v89, 3, v20
	;; [unrolled: 1-line block ×5, first 2 shown]
	ds_load_2addr_b64 v[19:22], v80 offset1:176
	ds_load_2addr_b64 v[23:26], v2 offset0:32 offset1:208
	v_and_b32_e32 v28, 7, v79
	global_wb scope:SCOPE_SE
	s_wait_loadcnt_dscnt 0x0
	s_barrier_signal -1
	s_barrier_wait -1
	global_inv scope:SCOPE_SE
	v_dual_mul_f32 v32, v11, v43 :: v_dual_lshlrev_b32 v29, 3, v28
	v_mul_f32_e32 v27, v10, v43
	v_mul_f32_e32 v30, v9, v43
	;; [unrolled: 1-line block ×4, first 2 shown]
	v_fmac_f32_e32 v32, v12, v42
	v_fma_f32 v9, v9, v42, -v27
	v_mul_f32_e32 v36, v15, v43
	v_fmac_f32_e32 v34, v14, v42
	v_mul_f32_e32 v33, v14, v43
	s_delay_alu instid0(VALU_DEP_4)
	v_dual_mul_f32 v38, v17, v43 :: v_dual_sub_f32 v9, v19, v9
	v_dual_mul_f32 v35, v16, v43 :: v_dual_fmac_f32 v30, v10, v42
	v_mul_f32_e32 v37, v18, v43
	v_fma_f32 v11, v11, v42, -v31
	v_fmac_f32_e32 v36, v16, v42
	v_fma_f32 v13, v13, v42, -v33
	v_sub_f32_e32 v10, v20, v30
	v_fmac_f32_e32 v38, v18, v42
	v_fma_f32 v15, v15, v42, -v35
	v_fma_f32 v17, v17, v42, -v37
	v_dual_sub_f32 v11, v21, v11 :: v_dual_sub_f32 v12, v22, v32
	v_dual_sub_f32 v13, v23, v13 :: v_dual_sub_f32 v14, v24, v34
	s_delay_alu instid0(VALU_DEP_4) | instskip(NEXT) | instid1(VALU_DEP_4)
	v_dual_sub_f32 v15, v25, v15 :: v_dual_sub_f32 v16, v26, v36
	v_dual_sub_f32 v17, v7, v17 :: v_dual_sub_f32 v18, v8, v38
	v_fma_f32 v19, v19, 2.0, -v9
	v_fma_f32 v20, v20, 2.0, -v10
	;; [unrolled: 1-line block ×10, first 2 shown]
	ds_store_2addr_b64 v90, v[19:20], v[9:10] offset1:4
	ds_store_2addr_b64 v89, v[21:22], v[11:12] offset1:4
	;; [unrolled: 1-line block ×5, first 2 shown]
	global_wb scope:SCOPE_SE
	s_wait_dscnt 0x0
	s_barrier_signal -1
	s_barrier_wait -1
	global_inv scope:SCOPE_SE
	global_load_b64 v[44:45], v29, s[10:11] offset:48
	ds_load_2addr_b64 v[7:10], v1 offset0:64 offset1:240
	ds_load_2addr_b64 v[11:14], v3 offset0:32 offset1:208
	ds_load_2addr_b64 v[15:18], v4 offset1:176
	v_and_b32_e32 v27, 15, v79
	v_and_or_b32 v19, 0x1f0, v5, v28
	v_and_or_b32 v20, 0x3f0, v6, v28
	;; [unrolled: 1-line block ×5, first 2 shown]
	v_lshlrev_b32_e32 v95, 3, v19
	v_lshlrev_b32_e32 v94, 3, v20
	s_delay_alu instid0(VALU_DEP_4)
	v_lshlrev_b32_e32 v92, 3, v22
	s_wait_loadcnt_dscnt 0x1
	v_dual_mul_f32 v34, v13, v45 :: v_dual_lshlrev_b32 v91, 3, v23
	v_dual_mul_f32 v28, v10, v45 :: v_dual_lshlrev_b32 v29, 3, v27
	v_mul_f32_e32 v30, v9, v45
	v_lshlrev_b32_e32 v93, 3, v21
	ds_load_2addr_b64 v[19:22], v80 offset1:176
	ds_load_2addr_b64 v[23:26], v2 offset0:32 offset1:208
	v_mul_f32_e32 v31, v12, v45
	v_mul_f32_e32 v32, v11, v45
	v_fmac_f32_e32 v30, v10, v44
	v_mul_f32_e32 v33, v14, v45
	s_wait_dscnt 0x2
	v_dual_mul_f32 v35, v16, v45 :: v_dual_fmac_f32 v34, v14, v44
	v_fma_f32 v11, v11, v44, -v31
	v_mul_f32_e32 v36, v15, v45
	v_dual_mul_f32 v37, v18, v45 :: v_dual_fmac_f32 v32, v12, v44
	v_mul_f32_e32 v38, v17, v45
	v_fma_f32 v9, v9, v44, -v28
	v_fma_f32 v13, v13, v44, -v33
	;; [unrolled: 1-line block ×4, first 2 shown]
	v_fmac_f32_e32 v38, v18, v44
	global_wb scope:SCOPE_SE
	s_wait_dscnt 0x0
	s_barrier_signal -1
	v_sub_f32_e32 v11, v21, v11
	v_dual_sub_f32 v13, v23, v13 :: v_dual_fmac_f32 v36, v16, v44
	v_dual_sub_f32 v9, v19, v9 :: v_dual_sub_f32 v10, v20, v30
	v_dual_sub_f32 v15, v25, v15 :: v_dual_sub_f32 v12, v22, v32
	;; [unrolled: 1-line block ×3, first 2 shown]
	s_delay_alu instid0(VALU_DEP_4)
	v_sub_f32_e32 v16, v26, v36
	v_sub_f32_e32 v18, v8, v38
	v_fma_f32 v19, v19, 2.0, -v9
	v_fma_f32 v20, v20, 2.0, -v10
	;; [unrolled: 1-line block ×10, first 2 shown]
	s_barrier_wait -1
	global_inv scope:SCOPE_SE
	ds_store_2addr_b64 v95, v[19:20], v[9:10] offset1:8
	ds_store_2addr_b64 v94, v[21:22], v[11:12] offset1:8
	ds_store_2addr_b64 v93, v[23:24], v[13:14] offset1:8
	ds_store_2addr_b64 v92, v[25:26], v[15:16] offset1:8
	ds_store_2addr_b64 v91, v[7:8], v[17:18] offset1:8
	global_wb scope:SCOPE_SE
	s_wait_dscnt 0x0
	s_barrier_signal -1
	s_barrier_wait -1
	global_inv scope:SCOPE_SE
	global_load_b64 v[46:47], v29, s[10:11] offset:112
	ds_load_2addr_b64 v[11:14], v3 offset0:32 offset1:208
	v_and_or_b32 v0, 0x1e0, v5, v27
	v_and_or_b32 v15, 0x3e0, v6, v27
	ds_load_2addr_b64 v[3:6], v4 offset1:176
	ds_load_2addr_b64 v[7:10], v1 offset0:64 offset1:240
	v_and_or_b32 v16, 0x7e0, v77, v27
	v_and_or_b32 v17, 0x7e0, v78, v27
	;; [unrolled: 1-line block ×3, first 2 shown]
	ds_load_2addr_b64 v[24:27], v80 offset1:176
	ds_load_2addr_b64 v[102:105], v2 offset0:32 offset1:208
	v_lshlrev_b32_e32 v100, 3, v0
	v_lshlrev_b32_e32 v98, 3, v16
	;; [unrolled: 1-line block ×4, first 2 shown]
	global_wb scope:SCOPE_SE
	s_wait_loadcnt_dscnt 0x0
	s_barrier_signal -1
	s_barrier_wait -1
	global_inv scope:SCOPE_SE
	v_mul_f32_e32 v19, v6, v47
	v_mul_f32_e32 v28, v5, v47
	;; [unrolled: 1-line block ×6, first 2 shown]
	v_fmac_f32_e32 v28, v6, v46
	v_dual_fmac_f32 v21, v4, v46 :: v_dual_mul_f32 v20, v13, v47
	v_fma_f32 v0, v9, v46, -v0
	s_delay_alu instid0(VALU_DEP_3) | instskip(NEXT) | instid1(VALU_DEP_3)
	v_sub_f32_e32 v35, v8, v28
	v_dual_sub_f32 v31, v105, v21 :: v_dual_fmac_f32 v20, v14, v46
	v_mul_f32_e32 v2, v9, v47
	v_fma_f32 v9, v11, v46, -v15
	s_delay_alu instid0(VALU_DEP_4) | instskip(NEXT) | instid1(VALU_DEP_4)
	v_fma_f32 v33, v8, 2.0, -v35
	v_fma_f32 v29, v105, 2.0, -v31
	s_delay_alu instid0(VALU_DEP_4) | instskip(SKIP_3) | instid1(VALU_DEP_4)
	v_dual_sub_f32 v23, v103, v20 :: v_dual_fmac_f32 v2, v10, v46
	v_mul_f32_e32 v16, v11, v47
	v_fma_f32 v10, v13, v46, -v17
	v_sub_f32_e32 v38, v26, v9
	v_fma_f32 v21, v103, 2.0, -v23
	s_delay_alu instid0(VALU_DEP_4)
	v_fmac_f32_e32 v16, v12, v46
	v_lshlrev_b32_e32 v96, 3, v18
	v_mul_f32_e32 v18, v4, v47
	v_fma_f32 v4, v5, v46, -v19
	v_sub_f32_e32 v19, v25, v2
	v_dual_sub_f32 v39, v27, v16 :: v_dual_sub_f32 v22, v102, v10
	s_delay_alu instid0(VALU_DEP_4)
	v_fma_f32 v3, v3, v46, -v18
	v_sub_f32_e32 v18, v24, v0
	v_sub_f32_e32 v34, v7, v4
	v_fma_f32 v17, v25, 2.0, -v19
	v_fma_f32 v36, v26, 2.0, -v38
	v_sub_f32_e32 v30, v104, v3
	v_fma_f32 v16, v24, 2.0, -v18
	v_fma_f32 v37, v27, 2.0, -v39
	v_fma_f32 v20, v102, 2.0, -v22
	v_fma_f32 v32, v7, 2.0, -v34
	v_fma_f32 v28, v104, 2.0, -v30
	ds_store_2addr_b64 v100, v[16:17], v[18:19] offset1:16
	ds_store_2addr_b64 v99, v[36:37], v[38:39] offset1:16
	;; [unrolled: 1-line block ×5, first 2 shown]
	global_wb scope:SCOPE_SE
	s_wait_dscnt 0x0
	s_barrier_signal -1
	s_barrier_wait -1
	global_inv scope:SCOPE_SE
	s_and_saveexec_b32 s2, vcc_lo
	s_cbranch_execz .LBB0_3
; %bb.2:
	v_add_nc_u32_e32 v0, 0x800, v80
	v_add_nc_u32_e32 v2, 0x1c00, v80
	v_add_nc_u32_e32 v3, 0x2800, v80
	ds_load_2addr_b64 v[16:19], v80 offset1:160
	ds_load_2addr_b64 v[20:23], v1 offset1:160
	ds_load_2addr_b64 v[36:39], v0 offset0:64 offset1:224
	ds_load_2addr_b64 v[28:31], v2 offset0:64 offset1:224
	ds_load_2addr_b64 v[32:35], v3 offset1:160
	ds_load_b64 v[50:51], v80 offset:12800
.LBB0_3:
	s_wait_alu 0xfffe
	s_or_b32 exec_lo, exec_lo, s2
	v_and_b32_e32 v81, 31, v79
	s_delay_alu instid0(VALU_DEP_1)
	v_mad_co_u64_u32 v[24:25], null, 0x50, v81, s[10:11]
	s_clause 0x4
	global_load_b128 v[12:15], v[24:25], off offset:240
	global_load_b128 v[4:7], v[24:25], off offset:256
	;; [unrolled: 1-line block ×5, first 2 shown]
	global_wb scope:SCOPE_SE
	s_wait_loadcnt_dscnt 0x0
	s_barrier_signal -1
	s_barrier_wait -1
	global_inv scope:SCOPE_SE
	v_dual_mul_f32 v111, v19, v13 :: v_dual_mul_f32 v112, v37, v15
	v_dual_mul_f32 v109, v38, v5 :: v_dual_mul_f32 v108, v20, v7
	;; [unrolled: 1-line block ×5, first 2 shown]
	v_mul_f32_e32 v114, v39, v5
	v_dual_mul_f32 v105, v30, v9 :: v_dual_mul_f32 v104, v32, v11
	v_dual_mul_f32 v123, v35, v25 :: v_dual_mul_f32 v102, v50, v27
	v_fma_f32 v118, v18, v12, -v111
	v_dual_fmac_f32 v109, v39, v4 :: v_dual_fmac_f32 v108, v21, v6
	v_fma_f32 v39, v32, v10, -v122
	v_fma_f32 v32, v50, v26, -v124
	v_dual_mul_f32 v115, v21, v7 :: v_dual_fmac_f32 v102, v51, v26
	v_dual_fmac_f32 v113, v19, v12 :: v_dual_fmac_f32 v110, v37, v14
	v_fma_f32 v117, v36, v14, -v112
	v_dual_fmac_f32 v105, v31, v8 :: v_dual_fmac_f32 v104, v33, v10
	v_fma_f32 v33, v34, v24, -v123
	v_dual_sub_f32 v132, v118, v32 :: v_dual_mul_f32 v119, v23, v1
	v_dual_mul_f32 v120, v29, v3 :: v_dual_mul_f32 v107, v22, v1
	v_mul_f32_e32 v106, v28, v3
	v_fma_f32 v116, v38, v4, -v114
	v_dual_fmac_f32 v103, v35, v24 :: v_dual_sub_f32 v124, v113, v102
	v_dual_add_f32 v18, v118, v32 :: v_dual_add_f32 v31, v113, v102
	v_add_f32_e32 v19, v117, v33
	s_delay_alu instid0(VALU_DEP_3)
	v_dual_sub_f32 v134, v117, v33 :: v_dual_sub_f32 v125, v110, v103
	v_dual_sub_f32 v128, v108, v105 :: v_dual_mul_f32 v127, 0xbf0a6770, v132
	v_fma_f32 v115, v20, v6, -v115
	v_fma_f32 v114, v22, v0, -v119
	v_dual_fmac_f32 v107, v23, v0 :: v_dual_fmac_f32 v106, v29, v2
	v_fma_f32 v112, v28, v2, -v120
	v_fma_f32 v111, v30, v8, -v121
	v_add_f32_e32 v28, v110, v103
	v_sub_f32_e32 v130, v116, v39
	v_fma_f32 v36, 0x3f575c64, v31, -v127
	v_add_f32_e32 v23, v114, v112
	v_mul_f32_e32 v123, 0xbf68dda4, v134
	v_dual_add_f32 v21, v116, v39 :: v_dual_add_f32 v30, v109, v104
	v_dual_sub_f32 v126, v109, v104 :: v_dual_sub_f32 v131, v115, v111
	v_add_f32_e32 v29, v107, v106
	v_dual_mul_f32 v51, 0xbf68dda4, v125 :: v_dual_add_f32 v36, v17, v36
	v_fma_f32 v38, 0x3ed4b147, v28, -v123
	v_dual_mul_f32 v121, 0xbf7d64f0, v130 :: v_dual_add_f32 v22, v108, v105
	v_sub_f32_e32 v129, v107, v106
	s_delay_alu instid0(VALU_DEP_4)
	v_fmamk_f32 v37, v19, 0x3ed4b147, v51
	v_mul_f32_e32 v120, 0xbf0a6770, v124
	v_add_f32_e32 v36, v38, v36
	v_fma_f32 v136, 0xbe11bafb, v30, -v121
	v_mul_f32_e32 v119, 0xbf4178ce, v131
	v_dual_add_f32 v20, v115, v111 :: v_dual_sub_f32 v133, v114, v112
	s_delay_alu instid0(VALU_DEP_3) | instskip(NEXT) | instid1(VALU_DEP_3)
	v_add_f32_e32 v36, v136, v36
	v_fma_f32 v137, 0xbf27a4f4, v22, -v119
	s_delay_alu instid0(VALU_DEP_1) | instskip(NEXT) | instid1(VALU_DEP_1)
	v_dual_fmamk_f32 v34, v18, 0x3f575c64, v120 :: v_dual_add_f32 v137, v137, v36
	v_add_f32_e32 v122, v16, v34
	v_lshlrev_b32_e32 v36, 3, v82
	v_mul_f32_e32 v34, 0xbe903f40, v129
	v_lshrrev_b32_e32 v82, 5, v79
	s_delay_alu instid0(VALU_DEP_4) | instskip(SKIP_1) | instid1(VALU_DEP_1)
	v_add_f32_e32 v37, v37, v122
	v_mul_f32_e32 v50, 0xbf7d64f0, v126
	v_fmamk_f32 v135, v21, 0xbe11bafb, v50
	s_delay_alu instid0(VALU_DEP_1) | instskip(SKIP_1) | instid1(VALU_DEP_1)
	v_add_f32_e32 v37, v135, v37
	v_mul_f32_e32 v35, 0xbf4178ce, v128
	v_fmamk_f32 v38, v20, 0xbf27a4f4, v35
	s_delay_alu instid0(VALU_DEP_1) | instskip(SKIP_2) | instid1(VALU_DEP_2)
	v_dual_add_f32 v138, v38, v37 :: v_dual_lshlrev_b32 v37, 3, v78
	v_fmamk_f32 v135, v23, 0xbf75a155, v34
	v_mul_f32_e32 v122, 0xbe903f40, v133
	v_dual_add_f32 v77, v135, v138 :: v_dual_lshlrev_b32 v38, 3, v77
	s_delay_alu instid0(VALU_DEP_2) | instskip(NEXT) | instid1(VALU_DEP_1)
	v_fma_f32 v136, 0xbf75a155, v29, -v122
	v_add_f32_e32 v78, v136, v137
	s_and_saveexec_b32 s2, vcc_lo
	s_cbranch_execz .LBB0_5
; %bb.4:
	v_mul_f32_e32 v153, 0xbf7d64f0, v124
	v_mul_f32_e32 v160, 0xbf0a6770, v128
	v_dual_mul_f32 v141, 0xbe11bafb, v31 :: v_dual_mul_f32 v148, 0xbe11bafb, v21
	v_mul_f32_e32 v156, 0x3e903f40, v125
	s_delay_alu instid0(VALU_DEP_4) | instskip(NEXT) | instid1(VALU_DEP_4)
	v_fmamk_f32 v137, v18, 0xbe11bafb, v153
	v_dual_mul_f32 v142, 0x3f575c64, v28 :: v_dual_fmamk_f32 v161, v20, 0x3f575c64, v160
	v_mul_f32_e32 v165, 0x3f0a6770, v125
	s_delay_alu instid0(VALU_DEP_4) | instskip(NEXT) | instid1(VALU_DEP_4)
	v_dual_mul_f32 v155, 0xbf75a155, v23 :: v_dual_fmamk_f32 v138, v19, 0xbf75a155, v156
	v_dual_add_f32 v137, v16, v137 :: v_dual_mul_f32 v158, 0x3f68dda4, v126
	v_fmamk_f32 v135, v132, 0x3f7d64f0, v141
	v_mul_f32_e32 v146, 0xbf75a155, v28
	v_fmamk_f32 v168, v19, 0x3f575c64, v165
	v_mul_f32_e32 v139, 0xbf75a155, v31
	v_dual_mul_f32 v145, 0x3ed4b147, v19 :: v_dual_mul_f32 v150, 0x3ed4b147, v30
	v_add_f32_e32 v135, v17, v135
	v_mul_f32_e32 v159, 0xbf27a4f4, v29
	s_delay_alu instid0(VALU_DEP_4) | instskip(SKIP_4) | instid1(VALU_DEP_4)
	v_fmamk_f32 v140, v132, 0x3e903f40, v139
	v_fmamk_f32 v136, v134, 0xbe903f40, v146
	v_dual_mul_f32 v162, 0xbf4178ce, v129 :: v_dual_mul_f32 v169, 0xbf4178ce, v126
	v_mul_f32_e32 v171, 0x3f68dda4, v133
	v_dual_mul_f32 v143, 0x3f575c64, v18 :: v_dual_mul_f32 v144, 0x3f575c64, v31
	v_dual_add_f32 v135, v136, v135 :: v_dual_fmamk_f32 v136, v130, 0xbf68dda4, v150
	v_mul_f32_e32 v154, 0x3f575c64, v22
	v_fmamk_f32 v166, v23, 0xbf27a4f4, v162
	v_fmac_f32_e32 v150, 0x3f68dda4, v130
	s_delay_alu instid0(VALU_DEP_4) | instskip(NEXT) | instid1(VALU_DEP_4)
	v_dual_fmamk_f32 v174, v29, 0x3ed4b147, v171 :: v_dual_add_f32 v135, v136, v135
	v_fmamk_f32 v136, v131, 0x3f0a6770, v154
	v_dual_mul_f32 v173, 0xbf0a6770, v126 :: v_dual_fmac_f32 v154, 0xbf0a6770, v131
	v_fmac_f32_e32 v141, 0xbf7d64f0, v132
	v_dual_mul_f32 v126, 0x3e903f40, v126 :: v_dual_add_f32 v127, v127, v144
	s_delay_alu instid0(VALU_DEP_4) | instskip(SKIP_1) | instid1(VALU_DEP_4)
	v_dual_add_f32 v135, v136, v135 :: v_dual_add_f32 v136, v138, v137
	v_fmamk_f32 v137, v21, 0x3ed4b147, v158
	v_add_f32_e32 v141, v17, v141
	v_fma_f32 v156, 0xbf75a155, v19, -v156
	v_dual_mul_f32 v151, 0xbf27a4f4, v20 :: v_dual_mul_f32 v152, 0xbf27a4f4, v22
	s_delay_alu instid0(VALU_DEP_4) | instskip(SKIP_2) | instid1(VALU_DEP_3)
	v_dual_add_f32 v137, v137, v136 :: v_dual_sub_f32 v34, v155, v34
	v_dual_fmac_f32 v146, 0x3e903f40, v134 :: v_dual_add_f32 v113, v17, v113
	v_sub_f32_e32 v51, v145, v51
	v_add_f32_e32 v137, v161, v137
	v_fmamk_f32 v138, v133, 0x3f4178ce, v159
	v_mul_f32_e32 v147, 0x3ed4b147, v28
	v_dual_add_f32 v141, v146, v141 :: v_dual_add_f32 v110, v113, v110
	v_sub_f32_e32 v50, v148, v50
	s_delay_alu instid0(VALU_DEP_4) | instskip(SKIP_4) | instid1(VALU_DEP_4)
	v_dual_add_f32 v136, v138, v135 :: v_dual_add_f32 v135, v17, v140
	v_fmamk_f32 v138, v134, 0xbf0a6770, v142
	v_mul_f32_e32 v140, 0xbf27a4f4, v30
	v_fmac_f32_e32 v142, 0x3f0a6770, v134
	v_dual_add_f32 v150, v150, v141 :: v_dual_add_f32 v123, v123, v147
	v_add_f32_e32 v135, v138, v135
	s_delay_alu instid0(VALU_DEP_4) | instskip(SKIP_3) | instid1(VALU_DEP_4)
	v_fmamk_f32 v138, v130, 0x3f4178ce, v140
	v_mul_f32_e32 v149, 0xbe11bafb, v30
	v_fmac_f32_e32 v140, 0xbf4178ce, v130
	v_add_f32_e32 v150, v154, v150
	v_add_f32_e32 v138, v138, v135
	v_dual_add_f32 v135, v166, v137 :: v_dual_mul_f32 v166, 0x3f68dda4, v128
	v_mul_f32_e32 v163, 0x3ed4b147, v22
	s_delay_alu instid0(VALU_DEP_1) | instskip(NEXT) | instid1(VALU_DEP_1)
	v_fmamk_f32 v167, v131, 0xbf68dda4, v163
	v_add_f32_e32 v137, v167, v138
	v_mul_f32_e32 v167, 0xbe11bafb, v29
	s_delay_alu instid0(VALU_DEP_1) | instskip(SKIP_1) | instid1(VALU_DEP_1)
	v_fmamk_f32 v170, v133, 0x3f7d64f0, v167
	v_mul_f32_e32 v161, 0xbe903f40, v124
	v_dual_mul_f32 v157, 0xbf75a155, v29 :: v_dual_fmamk_f32 v164, v18, 0xbf75a155, v161
	s_delay_alu instid0(VALU_DEP_1) | instskip(NEXT) | instid1(VALU_DEP_1)
	v_add_f32_e32 v164, v16, v164
	v_add_f32_e32 v138, v168, v164
	v_fmac_f32_e32 v139, 0xbe903f40, v132
	v_fmamk_f32 v164, v21, 0xbf27a4f4, v169
	s_delay_alu instid0(VALU_DEP_1) | instskip(SKIP_3) | instid1(VALU_DEP_3)
	v_dual_add_f32 v139, v17, v139 :: v_dual_add_f32 v138, v164, v138
	v_fmamk_f32 v164, v20, 0x3ed4b147, v166
	v_fmac_f32_e32 v163, 0x3f68dda4, v131
	v_fma_f32 v153, 0xbe11bafb, v18, -v153
	v_dual_add_f32 v139, v142, v139 :: v_dual_add_f32 v142, v164, v138
	s_delay_alu instid0(VALU_DEP_2) | instskip(NEXT) | instid1(VALU_DEP_2)
	v_add_f32_e32 v153, v16, v153
	v_dual_add_f32 v139, v140, v139 :: v_dual_mul_f32 v168, 0xbf7d64f0, v129
	s_delay_alu instid0(VALU_DEP_1) | instskip(NEXT) | instid1(VALU_DEP_2)
	v_add_f32_e32 v139, v163, v139
	v_fmamk_f32 v164, v23, 0xbe11bafb, v168
	v_dual_mul_f32 v163, 0x3f7d64f0, v134 :: v_dual_add_f32 v138, v170, v137
	v_fma_f32 v161, 0xbf75a155, v18, -v161
	v_mul_f32_e32 v134, 0xbf4178ce, v134
	s_delay_alu instid0(VALU_DEP_4)
	v_add_f32_e32 v137, v164, v142
	v_fma_f32 v142, 0x3f575c64, v19, -v165
	v_mul_f32_e32 v164, 0xbf4178ce, v132
	v_add_f32_e32 v140, v16, v161
	v_fmac_f32_e32 v167, 0xbf7d64f0, v133
	v_fma_f32 v165, 0xbf27a4f4, v21, -v169
	v_mul_f32_e32 v169, 0xbe903f40, v131
	s_delay_alu instid0(VALU_DEP_4) | instskip(NEXT) | instid1(VALU_DEP_4)
	v_dual_add_f32 v153, v156, v153 :: v_dual_add_f32 v142, v142, v140
	v_dual_add_f32 v140, v167, v139 :: v_dual_mul_f32 v167, 0xbf0a6770, v130
	v_fma_f32 v156, 0x3ed4b147, v21, -v158
	v_mul_f32_e32 v130, 0x3e903f40, v130
	s_delay_alu instid0(VALU_DEP_4) | instskip(SKIP_4) | instid1(VALU_DEP_4)
	v_add_f32_e32 v142, v165, v142
	v_fma_f32 v165, 0x3ed4b147, v20, -v166
	v_fmamk_f32 v161, v31, 0xbf27a4f4, v164
	v_fma_f32 v168, 0xbe11bafb, v23, -v168
	v_mul_f32_e32 v132, 0xbf68dda4, v132
	v_add_f32_e32 v142, v165, v142
	s_delay_alu instid0(VALU_DEP_4) | instskip(SKIP_1) | instid1(VALU_DEP_1)
	v_add_f32_e32 v139, v17, v161
	v_fmamk_f32 v161, v28, 0xbe11bafb, v163
	v_dual_fmamk_f32 v154, v31, 0x3ed4b147, v132 :: v_dual_add_f32 v139, v161, v139
	v_fmamk_f32 v161, v30, 0x3f575c64, v167
	s_delay_alu instid0(VALU_DEP_1) | instskip(NEXT) | instid1(VALU_DEP_1)
	v_dual_mul_f32 v166, 0xbf4178ce, v124 :: v_dual_add_f32 v139, v161, v139
	v_fma_f32 v165, 0xbf27a4f4, v18, -v166
	v_fmamk_f32 v161, v22, 0xbf75a155, v169
	v_mul_f32_e32 v170, 0x3f7d64f0, v125
	s_delay_alu instid0(VALU_DEP_3) | instskip(NEXT) | instid1(VALU_DEP_3)
	v_add_f32_e32 v165, v16, v165
	v_add_f32_e32 v161, v161, v139
	s_delay_alu instid0(VALU_DEP_3) | instskip(SKIP_1) | instid1(VALU_DEP_2)
	v_fma_f32 v172, 0xbe11bafb, v19, -v170
	v_dual_add_f32 v139, v168, v142 :: v_dual_fmac_f32 v170, 0xbe11bafb, v19
	v_add_f32_e32 v165, v172, v165
	v_fma_f32 v172, 0x3f575c64, v21, -v173
	v_dual_add_f32 v142, v174, v161 :: v_dual_mul_f32 v161, 0xbe903f40, v128
	v_fmac_f32_e32 v173, 0x3f575c64, v21
	s_delay_alu instid0(VALU_DEP_3) | instskip(SKIP_1) | instid1(VALU_DEP_4)
	v_add_f32_e32 v165, v172, v165
	v_mul_f32_e32 v172, 0x3f68dda4, v129
	v_fma_f32 v168, 0xbf75a155, v20, -v161
	v_mul_f32_e32 v129, 0x3f0a6770, v129
	s_delay_alu instid0(VALU_DEP_2) | instskip(NEXT) | instid1(VALU_DEP_4)
	v_add_f32_e32 v146, v168, v165
	v_fma_f32 v165, 0x3ed4b147, v23, -v172
	s_delay_alu instid0(VALU_DEP_1) | instskip(SKIP_3) | instid1(VALU_DEP_3)
	v_dual_add_f32 v141, v165, v146 :: v_dual_add_f32 v146, v156, v153
	v_fma_f32 v153, 0x3f575c64, v20, -v160
	v_fma_f32 v156, 0xbf27a4f4, v23, -v162
	v_mul_f32_e32 v162, 0x3f7d64f0, v128
	v_dual_add_f32 v146, v153, v146 :: v_dual_mul_f32 v153, 0xbf68dda4, v124
	v_add_f32_e32 v124, v17, v154
	v_fmamk_f32 v154, v28, 0xbf27a4f4, v134
	v_fmac_f32_e32 v159, 0xbf4178ce, v133
	v_fmac_f32_e32 v161, 0xbf75a155, v20
	v_fma_f32 v158, 0x3ed4b147, v18, -v153
	s_delay_alu instid0(VALU_DEP_4) | instskip(SKIP_2) | instid1(VALU_DEP_4)
	v_add_f32_e32 v124, v154, v124
	v_mul_f32_e32 v160, 0xbf4178ce, v125
	v_fmamk_f32 v125, v30, 0xbf75a155, v130
	v_dual_mul_f32 v131, 0x3f7d64f0, v131 :: v_dual_add_f32 v154, v16, v158
	v_mul_f32_e32 v133, 0x3f0a6770, v133
	s_delay_alu instid0(VALU_DEP_3) | instskip(NEXT) | instid1(VALU_DEP_2)
	v_dual_fmac_f32 v153, 0x3ed4b147, v18 :: v_dual_add_f32 v124, v125, v124
	v_fmamk_f32 v165, v29, 0x3f575c64, v133
	s_delay_alu instid0(VALU_DEP_4) | instskip(NEXT) | instid1(VALU_DEP_1)
	v_fmamk_f32 v125, v22, 0xbe11bafb, v131
	v_dual_add_f32 v128, v125, v124 :: v_dual_add_f32 v125, v159, v150
	v_fma_f32 v158, 0xbf27a4f4, v19, -v160
	v_add_f32_e32 v124, v156, v146
	v_fma_f32 v146, 0x3f575c64, v23, -v129
	s_delay_alu instid0(VALU_DEP_3) | instskip(SKIP_1) | instid1(VALU_DEP_1)
	v_dual_fmac_f32 v129, 0x3f575c64, v23 :: v_dual_add_f32 v154, v158, v154
	v_fma_f32 v158, 0xbf75a155, v21, -v126
	v_add_f32_e32 v150, v158, v154
	v_fma_f32 v154, 0xbe11bafb, v20, -v162
	v_fmac_f32_e32 v162, 0xbe11bafb, v20
	v_fmac_f32_e32 v126, 0xbf75a155, v21
	v_add_f32_e32 v128, v165, v128
	s_delay_alu instid0(VALU_DEP_4) | instskip(SKIP_1) | instid1(VALU_DEP_2)
	v_add_f32_e32 v144, v154, v150
	v_add_f32_e32 v118, v16, v118
	v_dual_add_f32 v150, v17, v127 :: v_dual_add_f32 v127, v146, v144
	s_delay_alu instid0(VALU_DEP_2) | instskip(SKIP_1) | instid1(VALU_DEP_3)
	v_add_f32_e32 v113, v118, v117
	v_sub_f32_e32 v117, v143, v120
	v_dual_add_f32 v118, v123, v150 :: v_dual_add_f32 v109, v110, v109
	s_delay_alu instid0(VALU_DEP_1) | instskip(NEXT) | instid1(VALU_DEP_4)
	v_add_f32_e32 v108, v109, v108
	v_add_f32_e32 v110, v113, v116
	;; [unrolled: 1-line block ×4, first 2 shown]
	s_delay_alu instid0(VALU_DEP_4) | instskip(NEXT) | instid1(VALU_DEP_3)
	v_add_f32_e32 v107, v108, v107
	v_dual_add_f32 v109, v110, v115 :: v_dual_add_f32 v110, v113, v118
	v_add_f32_e32 v113, v119, v152
	s_delay_alu instid0(VALU_DEP_2) | instskip(NEXT) | instid1(VALU_DEP_4)
	v_dual_add_f32 v51, v51, v116 :: v_dual_add_f32 v108, v109, v114
	v_add_f32_e32 v106, v107, v106
	s_delay_alu instid0(VALU_DEP_3) | instskip(NEXT) | instid1(VALU_DEP_3)
	v_dual_add_f32 v109, v113, v110 :: v_dual_add_f32 v110, v122, v157
	v_add_f32_e32 v107, v108, v112
	s_delay_alu instid0(VALU_DEP_3) | instskip(SKIP_2) | instid1(VALU_DEP_4)
	v_add_f32_e32 v105, v106, v105
	v_add_f32_e32 v50, v50, v51
	v_sub_f32_e32 v51, v151, v35
	v_dual_add_f32 v35, v110, v109 :: v_dual_add_f32 v106, v107, v111
	v_fma_f32 v107, 0xbf27a4f4, v31, -v164
	v_fma_f32 v31, 0x3ed4b147, v31, -v132
	s_delay_alu instid0(VALU_DEP_4) | instskip(NEXT) | instid1(VALU_DEP_4)
	v_dual_add_f32 v50, v51, v50 :: v_dual_add_f32 v51, v105, v104
	v_add_f32_e32 v39, v106, v39
	s_delay_alu instid0(VALU_DEP_4) | instskip(SKIP_1) | instid1(VALU_DEP_4)
	v_add_f32_e32 v104, v17, v107
	v_fma_f32 v105, 0xbe11bafb, v28, -v163
	v_dual_add_f32 v34, v34, v50 :: v_dual_add_f32 v17, v17, v31
	s_delay_alu instid0(VALU_DEP_4) | instskip(NEXT) | instid1(VALU_DEP_3)
	v_add_f32_e32 v39, v39, v33
	v_dual_add_f32 v50, v51, v103 :: v_dual_add_f32 v51, v105, v104
	v_fma_f32 v103, 0x3f575c64, v30, -v167
	v_fmac_f32_e32 v166, 0xbf27a4f4, v18
	s_delay_alu instid0(VALU_DEP_3) | instskip(SKIP_1) | instid1(VALU_DEP_3)
	v_dual_add_f32 v32, v39, v32 :: v_dual_add_f32 v33, v50, v102
	v_fma_f32 v28, 0xbf27a4f4, v28, -v134
	v_dual_add_f32 v39, v103, v51 :: v_dual_add_f32 v50, v16, v166
	v_fma_f32 v51, 0xbf75a155, v22, -v169
	v_add_f32_e32 v16, v16, v153
	s_delay_alu instid0(VALU_DEP_4) | instskip(NEXT) | instid1(VALU_DEP_4)
	v_dual_fmac_f32 v160, 0xbf27a4f4, v19 :: v_dual_add_f32 v17, v28, v17
	v_add_f32_e32 v50, v170, v50
	s_delay_alu instid0(VALU_DEP_4)
	v_add_f32_e32 v18, v51, v39
	v_fma_f32 v19, 0xbf75a155, v30, -v130
	v_fma_f32 v22, 0xbe11bafb, v22, -v131
	;; [unrolled: 1-line block ×3, first 2 shown]
	v_dual_add_f32 v31, v173, v50 :: v_dual_add_f32 v16, v160, v16
	v_fmac_f32_e32 v172, 0x3ed4b147, v23
	s_delay_alu instid0(VALU_DEP_2) | instskip(NEXT) | instid1(VALU_DEP_3)
	v_add_f32_e32 v21, v161, v31
	v_dual_add_f32 v17, v19, v17 :: v_dual_add_f32 v16, v126, v16
	v_mul_u32_u24_e32 v19, 0x160, v82
	s_delay_alu instid0(VALU_DEP_2) | instskip(SKIP_1) | instid1(VALU_DEP_3)
	v_add_f32_e32 v20, v22, v17
	v_fma_f32 v22, 0x3f575c64, v29, -v133
	v_or_b32_e32 v19, v19, v81
	v_add_f32_e32 v17, v28, v18
	s_delay_alu instid0(VALU_DEP_2) | instskip(SKIP_1) | instid1(VALU_DEP_2)
	v_lshlrev_b32_e32 v23, 3, v19
	v_dual_add_f32 v29, v162, v16 :: v_dual_add_f32 v16, v172, v21
	v_dual_add_f32 v19, v22, v20 :: v_dual_add_nc_u32 v20, 0x800, v23
	s_delay_alu instid0(VALU_DEP_2)
	v_add_f32_e32 v18, v129, v29
	ds_store_2addr_b64 v23, v[32:33], v[34:35] offset1:32
	ds_store_2addr_b64 v23, v[127:128], v[124:125] offset0:64 offset1:96
	ds_store_2addr_b64 v23, v[141:142], v[139:140] offset0:128 offset1:160
	;; [unrolled: 1-line block ×3, first 2 shown]
	ds_store_2addr_b64 v20, v[135:136], v[18:19] offset1:32
	ds_store_b64 v23, v[77:78] offset:2560
.LBB0_5:
	s_wait_alu 0xfffe
	s_or_b32 exec_lo, exec_lo, s2
	v_lshlrev_b32_e32 v16, 5, v79
	global_wb scope:SCOPE_SE
	s_wait_dscnt 0x0
	s_barrier_signal -1
	s_barrier_wait -1
	global_inv scope:SCOPE_SE
	global_load_b128 v[20:23], v16, s[10:11] offset:2800
	v_lshlrev_b32_e32 v17, 5, v101
	v_add_nc_u32_e32 v39, 0xa00, v80
	v_add_nc_u32_e32 v50, 0x2c00, v80
	s_clause 0x2
	global_load_b128 v[32:35], v16, s[10:11] offset:2816
	global_load_b128 v[28:31], v17, s[10:11] offset:2800
	;; [unrolled: 1-line block ×3, first 2 shown]
	v_add_nc_u32_e32 v101, 0x1400, v80
	v_add_nc_u32_e32 v51, 0x2000, v80
	ds_load_2addr_b64 v[102:105], v39 offset0:32 offset1:208
	ds_load_2addr_b64 v[106:109], v101 offset0:64 offset1:240
	;; [unrolled: 1-line block ×3, first 2 shown]
	ds_load_2addr_b64 v[114:117], v50 offset1:176
	ds_load_2addr_b64 v[118:121], v80 offset1:176
	s_add_nc_u64 s[2:3], s[8:9], 0x3700
	s_wait_loadcnt_dscnt 0x304
	v_mul_f32_e32 v122, v103, v21
	s_wait_dscnt 0x3
	v_dual_mul_f32 v123, v102, v21 :: v_dual_mul_f32 v124, v107, v23
	s_wait_loadcnt_dscnt 0x201
	v_mul_f32_e32 v128, v115, v35
	v_dual_mul_f32 v126, v111, v33 :: v_dual_mul_f32 v125, v106, v23
	s_wait_loadcnt 0x1
	v_dual_mul_f32 v127, v110, v33 :: v_dual_mul_f32 v132, v109, v31
	v_dual_mul_f32 v129, v114, v35 :: v_dual_mul_f32 v130, v105, v29
	s_wait_loadcnt 0x0
	v_dual_mul_f32 v133, v108, v31 :: v_dual_mul_f32 v134, v113, v17
	v_fma_f32 v102, v102, v20, -v122
	v_fmac_f32_e32 v123, v103, v20
	v_fma_f32 v103, v106, v22, -v124
	v_fma_f32 v110, v110, v32, -v126
	v_fma_f32 v122, v114, v34, -v128
	v_dual_mul_f32 v131, v104, v29 :: v_dual_mul_f32 v136, v117, v19
	v_mul_f32_e32 v137, v116, v19
	s_delay_alu instid0(VALU_DEP_3)
	v_dual_fmac_f32 v127, v111, v32 :: v_dual_sub_f32 v128, v102, v122
	v_fmac_f32_e32 v129, v115, v34
	v_fmac_f32_e32 v125, v107, v22
	v_mul_f32_e32 v135, v112, v17
	v_fma_f32 v106, v108, v30, -v132
	v_fma_f32 v112, v112, v16, -v134
	v_add_f32_e32 v107, v103, v110
	v_fma_f32 v104, v104, v28, -v130
	v_dual_fmac_f32 v131, v105, v28 :: v_dual_sub_f32 v130, v103, v110
	v_fma_f32 v124, v116, v18, -v136
	v_sub_f32_e32 v108, v102, v103
	v_add_f32_e32 v111, v102, v122
	v_sub_f32_e32 v114, v110, v122
	v_sub_f32_e32 v134, v129, v127
	v_dual_sub_f32 v150, v104, v124 :: v_dual_fmac_f32 v133, v109, v30
	v_sub_f32_e32 v132, v123, v125
	v_dual_sub_f32 v126, v125, v127 :: v_dual_sub_f32 v109, v122, v110
	s_wait_dscnt 0x0
	v_add_f32_e32 v148, v121, v131
	v_add_f32_e32 v116, v125, v127
	v_dual_fmac_f32 v135, v113, v16 :: v_dual_add_f32 v136, v123, v129
	v_dual_fmac_f32 v137, v117, v18 :: v_dual_sub_f32 v138, v127, v129
	s_delay_alu instid0(VALU_DEP_2) | instskip(SKIP_4) | instid1(VALU_DEP_3)
	v_dual_add_f32 v105, v118, v102 :: v_dual_sub_f32 v142, v133, v135
	v_dual_sub_f32 v117, v123, v129 :: v_dual_sub_f32 v144, v124, v112
	v_dual_sub_f32 v113, v103, v102 :: v_dual_sub_f32 v146, v106, v104
	v_add_f32_e32 v140, v106, v112
	v_fma_f32 v102, -0.5, v107, v118
	v_dual_add_f32 v115, v119, v123 :: v_dual_add_f32 v158, v113, v114
	v_dual_add_f32 v139, v120, v104 :: v_dual_add_f32 v154, v131, v137
	v_dual_sub_f32 v141, v131, v137 :: v_dual_add_f32 v156, v105, v103
	v_add_f32_e32 v145, v104, v124
	v_sub_f32_e32 v147, v112, v124
	v_dual_add_f32 v157, v108, v109 :: v_dual_fmamk_f32 v108, v117, 0x3f737871, v102
	v_dual_fmac_f32 v102, 0xbf737871, v117 :: v_dual_sub_f32 v143, v104, v106
	v_fma_f32 v104, -0.5, v111, v118
	v_dual_sub_f32 v123, v125, v123 :: v_dual_sub_f32 v152, v131, v133
	v_sub_f32_e32 v151, v106, v112
	v_sub_f32_e32 v153, v137, v135
	;; [unrolled: 1-line block ×3, first 2 shown]
	v_fma_f32 v103, -0.5, v116, v119
	v_add_f32_e32 v116, v156, v110
	v_fmamk_f32 v110, v126, 0xbf737871, v104
	v_fmac_f32_e32 v104, 0x3f737871, v126
	v_add_f32_e32 v113, v139, v106
	v_fma_f32 v106, -0.5, v140, v120
	v_fma_f32 v120, -0.5, v145, v120
	v_add_f32_e32 v109, v115, v125
	v_dual_add_f32 v125, v132, v134 :: v_dual_add_f32 v134, v146, v147
	v_dual_add_f32 v149, v133, v135 :: v_dual_add_f32 v132, v143, v144
	v_fma_f32 v105, -0.5, v136, v119
	v_dual_add_f32 v115, v148, v133 :: v_dual_fmamk_f32 v114, v142, 0xbf737871, v120
	v_dual_fmac_f32 v120, 0x3f737871, v142 :: v_dual_sub_f32 v155, v135, v137
	v_add_f32_e32 v118, v109, v127
	v_fma_f32 v107, -0.5, v149, v121
	v_fmamk_f32 v109, v128, 0xbf737871, v103
	v_fmac_f32_e32 v102, 0xbf167918, v126
	v_dual_fmac_f32 v104, 0xbf167918, v117 :: v_dual_add_f32 v119, v113, v112
	v_fmac_f32_e32 v121, -0.5, v154
	v_fmamk_f32 v111, v130, 0x3f737871, v105
	v_fmac_f32_e32 v105, 0xbf737871, v130
	v_fmac_f32_e32 v103, 0x3f737871, v128
	v_dual_add_f32 v123, v123, v138 :: v_dual_fmac_f32 v110, 0x3f167918, v117
	v_dual_add_f32 v133, v152, v153 :: v_dual_fmac_f32 v108, 0x3f167918, v126
	v_fmamk_f32 v112, v141, 0x3f737871, v106
	v_dual_fmac_f32 v106, 0xbf737871, v141 :: v_dual_add_f32 v127, v115, v135
	v_fmamk_f32 v113, v150, 0xbf737871, v107
	v_fmac_f32_e32 v107, 0x3f737871, v150
	s_delay_alu instid0(VALU_DEP_3)
	v_dual_add_f32 v117, v118, v129 :: v_dual_fmac_f32 v106, 0xbf167918, v142
	v_dual_fmac_f32 v109, 0xbf167918, v130 :: v_dual_fmac_f32 v120, 0xbf167918, v141
	v_add_f32_e32 v118, v119, v124
	v_fmamk_f32 v115, v151, 0x3f737871, v121
	v_fmac_f32_e32 v121, 0xbf737871, v151
	v_fmac_f32_e32 v111, 0xbf167918, v128
	;; [unrolled: 1-line block ×3, first 2 shown]
	v_dual_fmac_f32 v103, 0x3f167918, v130 :: v_dual_fmac_f32 v114, 0x3f167918, v141
	v_dual_add_f32 v131, v131, v155 :: v_dual_add_f32 v116, v116, v122
	v_fmac_f32_e32 v112, 0x3f167918, v142
	v_fmac_f32_e32 v113, 0xbf167918, v151
	;; [unrolled: 1-line block ×5, first 2 shown]
	v_dual_fmac_f32 v108, 0x3e9e377a, v157 :: v_dual_fmac_f32 v111, 0x3e9e377a, v123
	v_dual_fmac_f32 v104, 0x3e9e377a, v158 :: v_dual_fmac_f32 v109, 0x3e9e377a, v125
	v_dual_add_f32 v119, v127, v137 :: v_dual_fmac_f32 v110, 0x3e9e377a, v158
	v_dual_fmac_f32 v102, 0x3e9e377a, v157 :: v_dual_fmac_f32 v105, 0x3e9e377a, v123
	v_dual_fmac_f32 v103, 0x3e9e377a, v125 :: v_dual_fmac_f32 v112, 0x3e9e377a, v132
	;; [unrolled: 1-line block ×5, first 2 shown]
	v_fmac_f32_e32 v121, 0x3e9e377a, v131
	ds_store_b64 v80, v[108:109] offset:2816
	ds_store_b64 v80, v[110:111] offset:5632
	ds_store_b64 v80, v[104:105] offset:8448
	ds_store_b64 v80, v[102:103] offset:11264
	ds_store_2addr_b64 v80, v[116:117], v[118:119] offset1:176
	ds_store_b64 v80, v[112:113] offset:4224
	ds_store_b64 v80, v[114:115] offset:7040
	;; [unrolled: 1-line block ×4, first 2 shown]
	global_wb scope:SCOPE_SE
	s_wait_dscnt 0x0
	s_barrier_signal -1
	s_barrier_wait -1
	global_inv scope:SCOPE_SE
	global_load_b64 v[48:49], v[48:49], off offset:14080
	v_lshlrev_b32_e32 v102, 3, v79
	s_clause 0x8
	global_load_b64 v[122:123], v102, s[2:3] offset:1408
	global_load_b64 v[124:125], v102, s[2:3] offset:7040
	;; [unrolled: 1-line block ×9, first 2 shown]
	ds_load_2addr_b64 v[102:105], v80 offset1:176
	v_add_nc_u32_e32 v141, 0x400, v80
	v_add_nc_u32_e32 v143, 0x1000, v80
	;; [unrolled: 1-line block ×4, first 2 shown]
	s_wait_loadcnt_dscnt 0x900
	v_mul_f32_e32 v106, v103, v49
	v_mul_f32_e32 v107, v102, v49
	s_wait_loadcnt 0x8
	v_mul_f32_e32 v49, v104, v123
	s_delay_alu instid0(VALU_DEP_3) | instskip(NEXT) | instid1(VALU_DEP_3)
	v_fma_f32 v106, v102, v48, -v106
	v_dual_fmac_f32 v107, v103, v48 :: v_dual_mul_f32 v48, v105, v123
	s_delay_alu instid0(VALU_DEP_3)
	v_fmac_f32_e32 v49, v105, v122
	ds_store_b64 v80, v[106:107]
	ds_load_2addr_b64 v[106:109], v101 offset0:64 offset1:240
	ds_load_2addr_b64 v[110:113], v51 offset0:32 offset1:208
	;; [unrolled: 1-line block ×3, first 2 shown]
	ds_load_2addr_b64 v[118:121], v50 offset1:176
	v_fma_f32 v48, v104, v122, -v48
	s_wait_loadcnt_dscnt 0x703
	v_mul_f32_e32 v102, v109, v125
	s_wait_loadcnt_dscnt 0x602
	v_dual_mul_f32 v103, v108, v125 :: v_dual_mul_f32 v104, v111, v127
	s_wait_loadcnt_dscnt 0x501
	v_dual_mul_f32 v105, v110, v127 :: v_dual_mul_f32 v122, v115, v129
	s_wait_loadcnt 0x4
	v_dual_mul_f32 v123, v114, v129 :: v_dual_mul_f32 v144, v113, v131
	v_mul_f32_e32 v125, v112, v131
	s_wait_loadcnt_dscnt 0x200
	v_mul_f32_e32 v146, v119, v135
	v_mul_f32_e32 v129, v118, v135
	;; [unrolled: 1-line block ×4, first 2 shown]
	s_wait_loadcnt 0x1
	v_mul_f32_e32 v135, v107, v137
	v_mul_f32_e32 v131, v106, v137
	s_wait_loadcnt 0x0
	v_mul_f32_e32 v137, v121, v139
	v_mul_f32_e32 v133, v120, v139
	v_fma_f32 v102, v108, v124, -v102
	v_fmac_f32_e32 v103, v109, v124
	v_fma_f32 v104, v110, v126, -v104
	v_fmac_f32_e32 v105, v111, v126
	;; [unrolled: 2-line block ×8, first 2 shown]
	ds_store_2addr_b64 v140, v[102:103], v[104:105] offset0:48 offset1:224
	ds_store_2addr_b64 v141, v[48:49], v[122:123] offset0:48 offset1:224
	;; [unrolled: 1-line block ×4, first 2 shown]
	ds_store_b64 v80, v[132:133] offset:12672
	global_wb scope:SCOPE_SE
	s_wait_dscnt 0x0
	s_barrier_signal -1
	s_barrier_wait -1
	global_inv scope:SCOPE_SE
	ds_load_2addr_b64 v[102:105], v80 offset1:176
	ds_load_2addr_b64 v[106:109], v101 offset0:64 offset1:240
	ds_load_2addr_b64 v[110:113], v51 offset0:32 offset1:208
	;; [unrolled: 1-line block ×3, first 2 shown]
	ds_load_2addr_b64 v[118:121], v50 offset1:176
	global_wb scope:SCOPE_SE
	s_wait_dscnt 0x0
	s_barrier_signal -1
	s_barrier_wait -1
	global_inv scope:SCOPE_SE
	v_dual_sub_f32 v122, v102, v108 :: v_dual_sub_f32 v123, v103, v109
	v_dual_sub_f32 v110, v104, v110 :: v_dual_sub_f32 v111, v105, v111
	;; [unrolled: 1-line block ×5, first 2 shown]
	v_fma_f32 v120, v102, 2.0, -v122
	v_fma_f32 v121, v103, 2.0, -v123
	;; [unrolled: 1-line block ×10, first 2 shown]
	ds_store_b128 v53, v[120:123]
	ds_store_b128 v52, v[108:111]
	;; [unrolled: 1-line block ×5, first 2 shown]
	global_wb scope:SCOPE_SE
	s_wait_dscnt 0x0
	s_barrier_signal -1
	s_barrier_wait -1
	global_inv scope:SCOPE_SE
	ds_load_2addr_b64 v[102:105], v101 offset0:64 offset1:240
	ds_load_2addr_b64 v[106:109], v51 offset0:32 offset1:208
	ds_load_2addr_b64 v[110:113], v50 offset1:176
	ds_load_2addr_b64 v[114:117], v80 offset1:176
	ds_load_2addr_b64 v[118:121], v39 offset0:32 offset1:208
	global_wb scope:SCOPE_SE
	s_wait_dscnt 0x0
	s_barrier_signal -1
	s_barrier_wait -1
	global_inv scope:SCOPE_SE
	v_mul_f32_e32 v36, v41, v105
	v_mul_f32_e32 v37, v41, v104
	;; [unrolled: 1-line block ×10, first 2 shown]
	v_fmac_f32_e32 v36, v40, v104
	v_fma_f32 v37, v40, v105, -v37
	v_fmac_f32_e32 v38, v40, v106
	v_fma_f32 v48, v40, v107, -v48
	;; [unrolled: 2-line block ×5, first 2 shown]
	v_dual_sub_f32 v36, v114, v36 :: v_dual_sub_f32 v37, v115, v37
	v_dual_sub_f32 v40, v116, v38 :: v_dual_sub_f32 v41, v117, v48
	;; [unrolled: 1-line block ×5, first 2 shown]
	v_fma_f32 v106, v114, 2.0, -v36
	v_fma_f32 v107, v115, 2.0, -v37
	;; [unrolled: 1-line block ×10, first 2 shown]
	ds_store_2addr_b64 v85, v[106:107], v[36:37] offset1:2
	ds_store_2addr_b64 v84, v[108:109], v[40:41] offset1:2
	;; [unrolled: 1-line block ×5, first 2 shown]
	global_wb scope:SCOPE_SE
	s_wait_dscnt 0x0
	s_barrier_signal -1
	s_barrier_wait -1
	global_inv scope:SCOPE_SE
	ds_load_2addr_b64 v[52:55], v101 offset0:64 offset1:240
	ds_load_2addr_b64 v[102:105], v51 offset0:32 offset1:208
	ds_load_2addr_b64 v[106:109], v50 offset1:176
	ds_load_2addr_b64 v[110:113], v80 offset1:176
	ds_load_2addr_b64 v[114:117], v39 offset0:32 offset1:208
	global_wb scope:SCOPE_SE
	s_wait_dscnt 0x0
	s_barrier_signal -1
	s_barrier_wait -1
	global_inv scope:SCOPE_SE
	v_mul_f32_e32 v36, v43, v55
	v_mul_f32_e32 v37, v43, v54
	;; [unrolled: 1-line block ×9, first 2 shown]
	v_dual_mul_f32 v43, v43, v108 :: v_dual_fmac_f32 v36, v42, v54
	v_fma_f32 v37, v42, v55, -v37
	v_fmac_f32_e32 v38, v42, v102
	v_fma_f32 v54, v42, v103, -v40
	v_fmac_f32_e32 v48, v42, v104
	;; [unrolled: 2-line block ×4, first 2 shown]
	v_fma_f32 v85, v42, v109, -v43
	v_dual_sub_f32 v36, v110, v36 :: v_dual_sub_f32 v37, v111, v37
	v_sub_f32_e32 v40, v112, v38
	v_dual_sub_f32 v41, v113, v54 :: v_dual_sub_f32 v42, v114, v48
	v_dual_sub_f32 v43, v115, v55 :: v_dual_sub_f32 v48, v116, v49
	;; [unrolled: 1-line block ×3, first 2 shown]
	v_sub_f32_e32 v55, v53, v85
	v_fma_f32 v83, v110, 2.0, -v36
	v_fma_f32 v84, v111, 2.0, -v37
	;; [unrolled: 1-line block ×10, first 2 shown]
	ds_store_2addr_b64 v90, v[83:84], v[36:37] offset1:4
	ds_store_2addr_b64 v89, v[102:103], v[40:41] offset1:4
	;; [unrolled: 1-line block ×5, first 2 shown]
	global_wb scope:SCOPE_SE
	s_wait_dscnt 0x0
	s_barrier_signal -1
	s_barrier_wait -1
	global_inv scope:SCOPE_SE
	ds_load_2addr_b64 v[40:43], v101 offset0:64 offset1:240
	ds_load_2addr_b64 v[52:55], v51 offset0:32 offset1:208
	ds_load_2addr_b64 v[83:86], v50 offset1:176
	ds_load_2addr_b64 v[87:90], v80 offset1:176
	ds_load_2addr_b64 v[102:105], v39 offset0:32 offset1:208
	global_wb scope:SCOPE_SE
	s_wait_dscnt 0x0
	s_barrier_signal -1
	s_barrier_wait -1
	global_inv scope:SCOPE_SE
	v_mul_f32_e32 v36, v45, v43
	v_mul_f32_e32 v37, v45, v42
	;; [unrolled: 1-line block ×9, first 2 shown]
	v_dual_mul_f32 v45, v45, v85 :: v_dual_fmac_f32 v36, v44, v42
	v_fma_f32 v37, v44, v43, -v37
	v_fmac_f32_e32 v38, v44, v52
	v_fma_f32 v43, v44, v53, -v48
	v_fmac_f32_e32 v49, v44, v54
	;; [unrolled: 2-line block ×4, first 2 shown]
	v_fma_f32 v53, v44, v86, -v45
	v_dual_sub_f32 v36, v87, v36 :: v_dual_sub_f32 v37, v88, v37
	v_dual_sub_f32 v42, v89, v38 :: v_dual_sub_f32 v43, v90, v43
	;; [unrolled: 1-line block ×4, first 2 shown]
	v_sub_f32_e32 v52, v40, v109
	v_sub_f32_e32 v53, v41, v53
	v_fma_f32 v54, v87, 2.0, -v36
	v_fma_f32 v55, v88, 2.0, -v37
	;; [unrolled: 1-line block ×10, first 2 shown]
	ds_store_2addr_b64 v95, v[54:55], v[36:37] offset1:8
	ds_store_2addr_b64 v94, v[83:84], v[42:43] offset1:8
	;; [unrolled: 1-line block ×5, first 2 shown]
	global_wb scope:SCOPE_SE
	s_wait_dscnt 0x0
	s_barrier_signal -1
	s_barrier_wait -1
	global_inv scope:SCOPE_SE
	ds_load_2addr_b64 v[52:55], v101 offset0:64 offset1:240
	ds_load_2addr_b64 v[40:43], v51 offset0:32 offset1:208
	ds_load_2addr_b64 v[48:51], v50 offset1:176
	ds_load_2addr_b64 v[83:86], v80 offset1:176
	ds_load_2addr_b64 v[87:90], v39 offset0:32 offset1:208
	global_wb scope:SCOPE_SE
	s_wait_dscnt 0x0
	s_barrier_signal -1
	s_barrier_wait -1
	global_inv scope:SCOPE_SE
	v_mul_f32_e32 v36, v47, v55
	v_mul_f32_e32 v37, v47, v54
	;; [unrolled: 1-line block ×10, first 2 shown]
	v_fmac_f32_e32 v36, v46, v54
	v_fma_f32 v37, v46, v55, -v37
	v_fmac_f32_e32 v44, v46, v40
	v_fma_f32 v40, v46, v41, -v38
	;; [unrolled: 2-line block ×4, first 2 shown]
	s_delay_alu instid0(VALU_DEP_4)
	v_dual_fmac_f32 v93, v46, v50 :: v_dual_sub_f32 v42, v87, v45
	v_fma_f32 v49, v46, v51, -v47
	v_dual_sub_f32 v38, v83, v36 :: v_dual_sub_f32 v39, v84, v37
	v_sub_f32_e32 v50, v85, v44
	v_sub_f32_e32 v51, v86, v40
	v_dual_sub_f32 v43, v88, v41 :: v_dual_sub_f32 v46, v89, v91
	v_dual_sub_f32 v47, v90, v48 :: v_dual_sub_f32 v54, v52, v93
	v_sub_f32_e32 v55, v53, v49
	v_fma_f32 v36, v83, 2.0, -v38
	v_fma_f32 v37, v84, 2.0, -v39
	;; [unrolled: 1-line block ×10, first 2 shown]
	ds_store_2addr_b64 v100, v[36:37], v[38:39] offset1:16
	ds_store_2addr_b64 v99, v[48:49], v[50:51] offset1:16
	;; [unrolled: 1-line block ×5, first 2 shown]
	global_wb scope:SCOPE_SE
	s_wait_dscnt 0x0
	s_barrier_signal -1
	s_barrier_wait -1
	global_inv scope:SCOPE_SE
	s_and_saveexec_b32 s2, vcc_lo
	s_cbranch_execz .LBB0_7
; %bb.6:
	v_add_nc_u32_e32 v44, 0x800, v80
	v_add_nc_u32_e32 v45, 0x1c00, v80
	;; [unrolled: 1-line block ×3, first 2 shown]
	ds_load_2addr_b64 v[36:39], v80 offset1:160
	ds_load_2addr_b64 v[40:43], v101 offset1:160
	ds_load_2addr_b64 v[48:51], v44 offset0:64 offset1:224
	ds_load_2addr_b64 v[44:47], v45 offset0:64 offset1:224
	ds_load_2addr_b64 v[52:55], v52 offset1:160
	ds_load_b64 v[77:78], v80 offset:12800
.LBB0_7:
	s_wait_alu 0xfffe
	s_or_b32 exec_lo, exec_lo, s2
	global_wb scope:SCOPE_SE
	s_wait_dscnt 0x0
	s_barrier_signal -1
	s_barrier_wait -1
	global_inv scope:SCOPE_SE
	s_and_saveexec_b32 s2, vcc_lo
	s_cbranch_execz .LBB0_9
; %bb.8:
	v_dual_mul_f32 v83, v13, v39 :: v_dual_mul_f32 v84, v27, v78
	v_mul_f32_e32 v13, v13, v38
	s_delay_alu instid0(VALU_DEP_2) | instskip(SKIP_1) | instid1(VALU_DEP_4)
	v_dual_fmac_f32 v83, v12, v38 :: v_dual_mul_f32 v38, v15, v49
	v_mul_f32_e32 v27, v27, v77
	v_dual_fmac_f32 v84, v26, v77 :: v_dual_mul_f32 v77, v25, v55
	s_delay_alu instid0(VALU_DEP_3) | instskip(NEXT) | instid1(VALU_DEP_3)
	v_fmac_f32_e32 v38, v14, v48
	v_fma_f32 v26, v26, v78, -v27
	v_fma_f32 v27, v12, v39, -v13
	s_delay_alu instid0(VALU_DEP_4) | instskip(SKIP_2) | instid1(VALU_DEP_3)
	v_fmac_f32_e32 v77, v24, v54
	v_mul_f32_e32 v25, v25, v54
	v_dual_mul_f32 v54, v5, v51 :: v_dual_sub_f32 v13, v83, v84
	v_dual_mul_f32 v5, v5, v50 :: v_dual_sub_f32 v12, v38, v77
	s_delay_alu instid0(VALU_DEP_3) | instskip(SKIP_1) | instid1(VALU_DEP_4)
	v_fma_f32 v24, v24, v55, -v25
	v_mul_f32_e32 v55, v11, v53
	v_dual_mul_f32 v11, v11, v52 :: v_dual_fmac_f32 v54, v4, v50
	s_delay_alu instid0(VALU_DEP_4) | instskip(SKIP_4) | instid1(VALU_DEP_4)
	v_mul_f32_e32 v25, 0x3e903f40, v12
	v_dual_mul_f32 v15, v15, v48 :: v_dual_add_f32 v48, v26, v27
	v_mul_f32_e32 v39, 0xbf7d64f0, v13
	v_mul_f32_e32 v50, v7, v41
	v_fma_f32 v53, v10, v53, -v11
	v_fma_f32 v14, v14, v49, -v15
	;; [unrolled: 1-line block ×3, first 2 shown]
	v_dual_mul_f32 v4, v9, v46 :: v_dual_fmac_f32 v55, v10, v52
	v_dual_mul_f32 v52, v9, v47 :: v_dual_fmamk_f32 v15, v48, 0xbe11bafb, v39
	s_delay_alu instid0(VALU_DEP_4) | instskip(NEXT) | instid1(VALU_DEP_2)
	v_dual_add_f32 v49, v24, v14 :: v_dual_fmac_f32 v50, v6, v40
	v_dual_mul_f32 v5, v7, v40 :: v_dual_fmac_f32 v52, v8, v46
	s_delay_alu instid0(VALU_DEP_3) | instskip(NEXT) | instid1(VALU_DEP_3)
	v_add_f32_e32 v15, v37, v15
	v_fmamk_f32 v78, v49, 0xbf75a155, v25
	v_add_f32_e32 v10, v53, v51
	v_fma_f32 v46, v8, v47, -v4
	v_dual_sub_f32 v40, v50, v52 :: v_dual_mul_f32 v47, v1, v43
	s_delay_alu instid0(VALU_DEP_4)
	v_add_f32_e32 v4, v78, v15
	v_sub_f32_e32 v85, v54, v55
	v_mul_f32_e32 v1, v1, v42
	v_sub_f32_e32 v86, v27, v26
	v_dual_mul_f32 v78, v3, v45 :: v_dual_fmac_f32 v47, v0, v42
	v_sub_f32_e32 v90, v51, v53
	v_dual_mul_f32 v9, 0x3f68dda4, v85 :: v_dual_add_f32 v42, v84, v83
	v_fma_f32 v41, v6, v41, -v5
	s_delay_alu instid0(VALU_DEP_4) | instskip(SKIP_1) | instid1(VALU_DEP_4)
	v_fmac_f32_e32 v78, v2, v44
	v_dual_mul_f32 v3, v3, v44 :: v_dual_mul_f32 v8, 0xbf7d64f0, v86
	v_fmamk_f32 v5, v10, 0x3ed4b147, v9
	s_delay_alu instid0(VALU_DEP_4) | instskip(NEXT) | instid1(VALU_DEP_4)
	v_dual_add_f32 v15, v46, v41 :: v_dual_mul_f32 v6, 0xbf0a6770, v40
	v_dual_sub_f32 v44, v47, v78 :: v_dual_sub_f32 v87, v14, v24
	s_delay_alu instid0(VALU_DEP_4) | instskip(SKIP_1) | instid1(VALU_DEP_4)
	v_fma_f32 v45, v2, v45, -v3
	v_fma_f32 v43, v0, v43, -v1
	v_dual_add_f32 v4, v5, v4 :: v_dual_fmamk_f32 v5, v15, 0x3f575c64, v6
	v_add_f32_e32 v88, v77, v38
	v_fma_f32 v0, 0xbe11bafb, v42, -v8
	v_dual_mul_f32 v11, 0x3e903f40, v87 :: v_dual_add_f32 v92, v55, v54
	v_dual_mul_f32 v89, 0xbf4178ce, v44 :: v_dual_sub_f32 v94, v41, v46
	v_add_f32_e32 v91, v45, v43
	v_add_f32_e32 v4, v5, v4
	;; [unrolled: 1-line block ×3, first 2 shown]
	v_fma_f32 v1, 0xbf75a155, v88, -v11
	v_mul_f32_e32 v93, 0x3f68dda4, v90
	v_dual_fmamk_f32 v2, v91, 0xbf27a4f4, v89 :: v_dual_add_f32 v95, v52, v50
	v_mul_f32_e32 v96, 0xbf0a6770, v94
	s_delay_alu instid0(VALU_DEP_4) | instskip(NEXT) | instid1(VALU_DEP_4)
	v_add_f32_e32 v0, v1, v0
	v_fma_f32 v3, 0x3ed4b147, v92, -v93
	s_delay_alu instid0(VALU_DEP_4) | instskip(SKIP_1) | instid1(VALU_DEP_3)
	v_dual_add_f32 v1, v2, v4 :: v_dual_mul_f32 v2, 0xbe903f40, v13
	v_dual_sub_f32 v97, v43, v45 :: v_dual_mul_f32 v4, 0x3f0a6770, v12
	v_add_f32_e32 v0, v3, v0
	v_fma_f32 v5, 0x3f575c64, v95, -v96
	s_delay_alu instid0(VALU_DEP_4) | instskip(NEXT) | instid1(VALU_DEP_4)
	v_dual_fmamk_f32 v3, v48, 0xbf75a155, v2 :: v_dual_add_f32 v98, v78, v47
	v_mul_f32_e32 v99, 0xbf4178ce, v97
	v_fma_f32 v2, 0xbf75a155, v48, -v2
	s_delay_alu instid0(VALU_DEP_3) | instskip(SKIP_1) | instid1(VALU_DEP_4)
	v_dual_mul_f32 v100, 0xbf4178ce, v85 :: v_dual_add_f32 v3, v37, v3
	v_dual_add_f32 v0, v5, v0 :: v_dual_mul_f32 v101, 0xbe903f40, v86
	v_fma_f32 v5, 0xbf27a4f4, v98, -v99
	s_delay_alu instid0(VALU_DEP_4)
	v_dual_mul_f32 v103, 0x3f0a6770, v87 :: v_dual_add_f32 v2, v37, v2
	v_fmamk_f32 v7, v49, 0x3f575c64, v4
	v_fma_f32 v4, 0x3f575c64, v49, -v4
	v_mul_f32_e32 v102, 0x3f68dda4, v40
	v_add_f32_e32 v0, v5, v0
	v_fma_f32 v5, 0xbf75a155, v42, -v101
	v_mul_f32_e32 v104, 0xbf7d64f0, v44
	v_dual_add_f32 v2, v4, v2 :: v_dual_add_f32 v3, v7, v3
	v_fmamk_f32 v7, v10, 0xbf27a4f4, v100
	s_delay_alu instid0(VALU_DEP_4) | instskip(SKIP_2) | instid1(VALU_DEP_4)
	v_dual_add_f32 v5, v36, v5 :: v_dual_mul_f32 v106, 0xbf4178ce, v90
	v_fma_f32 v105, 0x3f575c64, v88, -v103
	v_fmac_f32_e32 v101, 0xbf75a155, v42
	v_add_f32_e32 v3, v7, v3
	v_fmamk_f32 v7, v15, 0x3ed4b147, v102
	v_fma_f32 v4, 0xbf27a4f4, v10, -v100
	v_add_f32_e32 v5, v105, v5
	v_fma_f32 v105, 0xbf27a4f4, v92, -v106
	v_dual_mul_f32 v107, 0x3f68dda4, v94 :: v_dual_add_f32 v100, v36, v101
	s_delay_alu instid0(VALU_DEP_4) | instskip(SKIP_3) | instid1(VALU_DEP_3)
	v_dual_add_f32 v3, v7, v3 :: v_dual_add_f32 v4, v4, v2
	v_fma_f32 v101, 0x3ed4b147, v15, -v102
	v_fmamk_f32 v7, v91, 0xbe11bafb, v104
	v_dual_mul_f32 v102, 0xbf27a4f4, v48 :: v_dual_add_f32 v5, v105, v5
	v_dual_mul_f32 v105, 0xbf7d64f0, v97 :: v_dual_add_f32 v4, v101, v4
	s_delay_alu instid0(VALU_DEP_3) | instskip(SKIP_3) | instid1(VALU_DEP_3)
	v_dual_add_f32 v3, v7, v3 :: v_dual_fmac_f32 v106, 0xbf27a4f4, v92
	v_fma_f32 v7, 0x3ed4b147, v95, -v107
	v_dual_fmac_f32 v103, 0x3f575c64, v88 :: v_dual_fmac_f32 v96, 0x3f575c64, v95
	v_dual_mul_f32 v101, 0xbe11bafb, v49 :: v_dual_fmac_f32 v8, 0xbe11bafb, v42
	v_add_f32_e32 v5, v7, v5
	v_fma_f32 v7, 0xbe11bafb, v98, -v105
	v_fmac_f32_e32 v11, 0xbf75a155, v88
	v_fmac_f32_e32 v93, 0x3ed4b147, v92
	v_add_f32_e32 v8, v36, v8
	v_mul_f32_e32 v110, 0xbf0a6770, v90
	v_add_f32_e32 v2, v7, v5
	v_add_f32_e32 v5, v103, v100
	v_fma_f32 v7, 0xbe11bafb, v91, -v104
	v_mul_f32_e32 v104, 0xbf4178ce, v86
	v_fmamk_f32 v100, v13, 0x3f4178ce, v102
	v_fmac_f32_e32 v107, 0x3ed4b147, v95
	v_add_f32_e32 v103, v106, v5
	v_add_f32_e32 v5, v7, v4
	s_delay_alu instid0(VALU_DEP_4) | instskip(SKIP_3) | instid1(VALU_DEP_4)
	v_dual_fmamk_f32 v7, v12, 0xbf7d64f0, v101 :: v_dual_add_f32 v4, v37, v100
	v_mul_f32_e32 v100, 0x3f575c64, v10
	v_dual_fmac_f32 v105, 0xbe11bafb, v98 :: v_dual_add_f32 v8, v11, v8
	v_mul_f32_e32 v111, 0xbe903f40, v94
	v_dual_add_f32 v7, v7, v4 :: v_dual_mul_f32 v108, 0x3ed4b147, v91
	s_delay_alu instid0(VALU_DEP_4) | instskip(NEXT) | instid1(VALU_DEP_4)
	v_dual_fmamk_f32 v106, v85, 0x3f0a6770, v100 :: v_dual_add_f32 v103, v107, v103
	v_dual_mul_f32 v107, 0xbf75a155, v15 :: v_dual_add_f32 v8, v93, v8
	v_fmac_f32_e32 v99, 0xbf27a4f4, v98
	s_delay_alu instid0(VALU_DEP_3) | instskip(NEXT) | instid1(VALU_DEP_4)
	v_add_f32_e32 v7, v106, v7
	v_dual_add_f32 v4, v105, v103 :: v_dual_fmamk_f32 v103, v42, 0xbf27a4f4, v104
	s_delay_alu instid0(VALU_DEP_4) | instskip(SKIP_2) | instid1(VALU_DEP_4)
	v_dual_mul_f32 v105, 0x3f7d64f0, v87 :: v_dual_add_f32 v8, v96, v8
	v_fmamk_f32 v106, v40, 0x3e903f40, v107
	v_fma_f32 v39, 0xbe11bafb, v48, -v39
	v_add_f32_e32 v103, v36, v103
	s_delay_alu instid0(VALU_DEP_4) | instskip(NEXT) | instid1(VALU_DEP_4)
	v_dual_fmamk_f32 v109, v88, 0xbe11bafb, v105 :: v_dual_add_f32 v8, v99, v8
	v_dual_add_f32 v7, v106, v7 :: v_dual_fmamk_f32 v106, v44, 0xbf68dda4, v108
	s_delay_alu instid0(VALU_DEP_4) | instskip(NEXT) | instid1(VALU_DEP_3)
	v_add_f32_e32 v39, v37, v39
	v_dual_add_f32 v103, v109, v103 :: v_dual_mul_f32 v114, 0x3e903f40, v90
	v_fmamk_f32 v109, v92, 0x3f575c64, v110
	s_delay_alu instid0(VALU_DEP_4)
	v_add_f32_e32 v7, v106, v7
	v_fma_f32 v25, 0xbf75a155, v49, -v25
	v_fmamk_f32 v106, v95, 0xbf75a155, v111
	v_mul_f32_e32 v99, 0x3f7d64f0, v94
	v_add_f32_e32 v103, v109, v103
	v_mul_f32_e32 v109, 0x3f68dda4, v97
	v_dual_add_f32 v25, v25, v39 :: v_dual_mul_f32 v116, 0x3f0a6770, v97
	v_fma_f32 v9, 0x3ed4b147, v10, -v9
	s_delay_alu instid0(VALU_DEP_4) | instskip(NEXT) | instid1(VALU_DEP_4)
	v_dual_add_f32 v39, v106, v103 :: v_dual_mul_f32 v118, 0xbe11bafb, v10
	v_dual_fmamk_f32 v103, v98, 0x3ed4b147, v109 :: v_dual_mul_f32 v106, 0x3ed4b147, v48
	s_delay_alu instid0(VALU_DEP_3) | instskip(SKIP_1) | instid1(VALU_DEP_3)
	v_dual_add_f32 v9, v9, v25 :: v_dual_mul_f32 v112, 0xbf4178ce, v87
	v_fma_f32 v25, 0x3f575c64, v15, -v6
	v_dual_add_f32 v6, v103, v39 :: v_dual_fmamk_f32 v11, v13, 0x3f68dda4, v106
	v_mul_f32_e32 v39, 0xbf27a4f4, v49
	v_mul_f32_e32 v93, 0xbf75a155, v10
	s_delay_alu instid0(VALU_DEP_4)
	v_add_f32_e32 v9, v25, v9
	v_fma_f32 v25, 0xbf27a4f4, v91, -v89
	v_add_f32_e32 v11, v37, v11
	v_fmamk_f32 v89, v12, 0x3f4178ce, v39
	v_mul_f32_e32 v103, 0xbf68dda4, v86
	v_fmamk_f32 v113, v88, 0xbf27a4f4, v112
	v_dual_add_f32 v9, v25, v9 :: v_dual_mul_f32 v86, 0xbf0a6770, v86
	s_delay_alu instid0(VALU_DEP_4) | instskip(SKIP_4) | instid1(VALU_DEP_4)
	v_add_f32_e32 v11, v89, v11
	v_fmamk_f32 v25, v85, 0xbe903f40, v93
	v_mul_f32_e32 v89, 0xbe11bafb, v15
	v_fmamk_f32 v96, v42, 0x3ed4b147, v103
	v_fmac_f32_e32 v102, 0xbf4178ce, v13
	v_dual_fmac_f32 v106, 0xbf68dda4, v13 :: v_dual_add_f32 v11, v25, v11
	s_delay_alu instid0(VALU_DEP_4) | instskip(NEXT) | instid1(VALU_DEP_4)
	v_fmamk_f32 v25, v40, 0xbf7d64f0, v89
	v_add_f32_e32 v96, v36, v96
	v_mul_f32_e32 v48, 0x3f575c64, v48
	v_fmac_f32_e32 v108, 0x3f68dda4, v44
	v_mul_f32_e32 v49, 0x3ed4b147, v49
	v_dual_add_f32 v11, v25, v11 :: v_dual_fmac_f32 v100, 0xbf0a6770, v85
	v_dual_add_f32 v25, v113, v96 :: v_dual_fmamk_f32 v96, v92, 0xbf75a155, v114
	v_mul_f32_e32 v113, 0x3f575c64, v91
	v_fmamk_f32 v115, v13, 0x3f0a6770, v48
	v_fmamk_f32 v117, v12, 0x3f68dda4, v49
	v_mul_f32_e32 v87, 0xbf68dda4, v87
	v_dual_add_f32 v25, v96, v25 :: v_dual_fmamk_f32 v96, v95, 0xbe11bafb, v99
	s_delay_alu instid0(VALU_DEP_4) | instskip(SKIP_2) | instid1(VALU_DEP_4)
	v_dual_fmamk_f32 v10, v44, 0xbf0a6770, v113 :: v_dual_add_f32 v115, v37, v115
	v_fmac_f32_e32 v48, 0xbf0a6770, v13
	v_fmac_f32_e32 v101, 0x3f7d64f0, v12
	v_dual_add_f32 v25, v96, v25 :: v_dual_fmamk_f32 v96, v98, 0x3f575c64, v116
	s_delay_alu instid0(VALU_DEP_4)
	v_add_f32_e32 v11, v10, v11
	v_add_f32_e32 v115, v117, v115
	v_fmamk_f32 v117, v85, 0x3f7d64f0, v118
	v_fmac_f32_e32 v118, 0xbf7d64f0, v85
	v_add_f32_e32 v10, v96, v25
	v_dual_add_f32 v25, v27, v37 :: v_dual_mul_f32 v96, 0xbf27a4f4, v15
	v_fmamk_f32 v15, v42, 0x3f575c64, v86
	v_add_f32_e32 v27, v117, v115
	s_delay_alu instid0(VALU_DEP_3) | instskip(SKIP_1) | instid1(VALU_DEP_4)
	v_dual_fmamk_f32 v115, v88, 0x3ed4b147, v87 :: v_dual_add_f32 v14, v14, v25
	v_add_f32_e32 v25, v36, v83
	v_add_f32_e32 v15, v36, v15
	v_fmamk_f32 v83, v40, 0x3f4178ce, v96
	s_delay_alu instid0(VALU_DEP_4) | instskip(NEXT) | instid1(VALU_DEP_4)
	v_dual_fmac_f32 v107, 0xbe903f40, v40 :: v_dual_add_f32 v14, v51, v14
	v_dual_add_f32 v25, v38, v25 :: v_dual_mul_f32 v38, 0xbf7d64f0, v90
	s_delay_alu instid0(VALU_DEP_4) | instskip(SKIP_1) | instid1(VALU_DEP_3)
	v_add_f32_e32 v15, v115, v15
	v_mul_f32_e32 v51, 0xbf4178ce, v94
	v_dual_add_f32 v14, v41, v14 :: v_dual_add_f32 v25, v54, v25
	s_delay_alu instid0(VALU_DEP_4) | instskip(SKIP_2) | instid1(VALU_DEP_4)
	v_fmamk_f32 v41, v92, 0xbe11bafb, v38
	v_mul_f32_e32 v54, 0xbf75a155, v91
	v_add_f32_e32 v27, v83, v27
	v_dual_add_f32 v14, v43, v14 :: v_dual_add_f32 v25, v50, v25
	s_delay_alu instid0(VALU_DEP_4) | instskip(SKIP_1) | instid1(VALU_DEP_3)
	v_add_f32_e32 v15, v41, v15
	v_fmamk_f32 v41, v95, 0xbf27a4f4, v51
	v_dual_mul_f32 v43, 0xbe903f40, v97 :: v_dual_add_f32 v14, v45, v14
	s_delay_alu instid0(VALU_DEP_4) | instskip(SKIP_1) | instid1(VALU_DEP_4)
	v_add_f32_e32 v25, v47, v25
	v_fmamk_f32 v45, v44, 0x3e903f40, v54
	v_add_f32_e32 v41, v41, v15
	s_delay_alu instid0(VALU_DEP_4) | instskip(SKIP_3) | instid1(VALU_DEP_4)
	v_fmamk_f32 v47, v98, 0xbf75a155, v43
	v_add_f32_e32 v46, v46, v14
	v_add_f32_e32 v25, v78, v25
	;; [unrolled: 1-line block ×3, first 2 shown]
	v_dual_add_f32 v45, v37, v102 :: v_dual_add_f32 v14, v47, v41
	s_delay_alu instid0(VALU_DEP_4) | instskip(NEXT) | instid1(VALU_DEP_4)
	v_add_f32_e32 v27, v53, v46
	v_add_f32_e32 v25, v52, v25
	v_fma_f32 v41, 0xbf27a4f4, v42, -v104
	v_fma_f32 v46, 0xbe11bafb, v88, -v105
	s_delay_alu instid0(VALU_DEP_4) | instskip(NEXT) | instid1(VALU_DEP_4)
	v_dual_add_f32 v45, v101, v45 :: v_dual_add_f32 v24, v24, v27
	v_add_f32_e32 v27, v55, v25
	s_delay_alu instid0(VALU_DEP_4) | instskip(SKIP_2) | instid1(VALU_DEP_4)
	v_add_f32_e32 v41, v36, v41
	v_fmac_f32_e32 v39, 0xbf4178ce, v12
	v_fmac_f32_e32 v49, 0xbf68dda4, v12
	v_dual_add_f32 v25, v26, v24 :: v_dual_add_f32 v24, v77, v27
	s_delay_alu instid0(VALU_DEP_4)
	v_add_f32_e32 v26, v46, v41
	v_fma_f32 v27, 0x3f575c64, v92, -v110
	v_add_f32_e32 v41, v100, v45
	v_add_f32_e32 v45, v37, v106
	v_fma_f32 v46, 0x3ed4b147, v42, -v103
	v_fma_f32 v42, 0x3f575c64, v42, -v86
	v_add_f32_e32 v26, v27, v26
	v_fma_f32 v27, 0xbf75a155, v95, -v111
	v_add_f32_e32 v41, v107, v41
	v_add_f32_e32 v39, v39, v45
	v_fma_f32 v45, 0xbf27a4f4, v88, -v112
	s_delay_alu instid0(VALU_DEP_4) | instskip(NEXT) | instid1(VALU_DEP_4)
	v_dual_add_f32 v37, v37, v48 :: v_dual_add_f32 v26, v27, v26
	v_add_f32_e32 v27, v108, v41
	v_add_f32_e32 v41, v36, v46
	v_fmac_f32_e32 v93, 0x3e903f40, v85
	s_delay_alu instid0(VALU_DEP_4) | instskip(SKIP_1) | instid1(VALU_DEP_4)
	v_dual_add_f32 v37, v49, v37 :: v_dual_add_f32 v24, v84, v24
	v_fma_f32 v47, 0x3ed4b147, v98, -v109
	v_add_f32_e32 v13, v45, v41
	v_fma_f32 v41, 0xbf75a155, v92, -v114
	v_add_f32_e32 v39, v93, v39
	v_fmac_f32_e32 v89, 0x3f7d64f0, v40
	v_dual_add_f32 v37, v118, v37 :: v_dual_fmac_f32 v96, 0xbf4178ce, v40
	s_delay_alu instid0(VALU_DEP_4) | instskip(SKIP_4) | instid1(VALU_DEP_4)
	v_dual_add_f32 v12, v41, v13 :: v_dual_add_f32 v13, v36, v42
	v_fma_f32 v36, 0x3ed4b147, v88, -v87
	v_fma_f32 v41, 0xbe11bafb, v95, -v99
	v_dual_add_f32 v26, v47, v26 :: v_dual_add_f32 v39, v89, v39
	v_fmac_f32_e32 v113, 0x3f0a6770, v44
	v_add_f32_e32 v13, v36, v13
	v_fma_f32 v36, 0xbe11bafb, v92, -v38
	v_mul_u32_u24_e32 v38, 0x160, v82
	v_add_f32_e32 v12, v41, v12
	v_fma_f32 v40, 0x3f575c64, v98, -v116
	v_add_f32_e32 v37, v96, v37
	v_add_f32_e32 v13, v36, v13
	v_or_b32_e32 v38, v38, v81
	v_fma_f32 v36, 0xbf27a4f4, v95, -v51
	v_fmac_f32_e32 v54, 0xbe903f40, v44
	v_fma_f32 v41, 0xbf75a155, v98, -v43
	v_add_f32_e32 v12, v40, v12
	v_lshlrev_b32_e32 v38, 3, v38
	v_dual_add_f32 v36, v36, v13 :: v_dual_add_f32 v13, v113, v39
	v_add_f32_e32 v37, v54, v37
	s_delay_alu instid0(VALU_DEP_2)
	v_dual_add_f32 v36, v41, v36 :: v_dual_add_nc_u32 v39, 0x800, v38
	ds_store_2addr_b64 v38, v[24:25], v[14:15] offset1:32
	ds_store_2addr_b64 v38, v[10:11], v[8:9] offset0:64 offset1:96
	ds_store_2addr_b64 v38, v[6:7], v[4:5] offset0:128 offset1:160
	;; [unrolled: 1-line block ×3, first 2 shown]
	ds_store_2addr_b64 v39, v[0:1], v[12:13] offset1:32
	ds_store_b64 v38, v[36:37] offset:2560
.LBB0_9:
	s_wait_alu 0xfffe
	s_or_b32 exec_lo, exec_lo, s2
	v_add_nc_u32_e32 v36, 0xa00, v80
	global_wb scope:SCOPE_SE
	s_wait_dscnt 0x0
	s_barrier_signal -1
	s_barrier_wait -1
	global_inv scope:SCOPE_SE
	ds_load_2addr_b64 v[0:3], v36 offset0:32 offset1:208
	v_add_nc_u32_e32 v37, 0x1400, v80
	v_add_nc_u32_e32 v38, 0x2000, v80
	;; [unrolled: 1-line block ×3, first 2 shown]
	s_mov_b32 s2, 0x29e4129e
	s_mov_b32 s3, 0x3f429e41
	s_wait_dscnt 0x0
	v_mul_f32_e32 v40, v21, v1
	ds_load_2addr_b64 v[4:7], v37 offset0:64 offset1:240
	ds_load_2addr_b64 v[8:11], v38 offset0:32 offset1:208
	ds_load_2addr_b64 v[12:15], v39 offset1:176
	ds_load_2addr_b64 v[24:27], v80 offset1:176
	v_mul_f32_e32 v21, v21, v0
	v_mul_f32_e32 v44, v29, v3
	v_dual_mul_f32 v29, v29, v2 :: v_dual_fmac_f32 v40, v20, v0
	s_wait_dscnt 0x3
	s_delay_alu instid0(VALU_DEP_2)
	v_dual_fmac_f32 v44, v28, v2 :: v_dual_mul_f32 v41, v23, v5
	s_wait_dscnt 0x2
	v_dual_mul_f32 v42, v33, v9 :: v_dual_mul_f32 v23, v23, v4
	v_mul_f32_e32 v33, v33, v8
	s_wait_dscnt 0x1
	v_mul_f32_e32 v43, v35, v13
	s_delay_alu instid0(VALU_DEP_3)
	v_dual_mul_f32 v45, v31, v7 :: v_dual_fmac_f32 v42, v32, v8
	v_fmac_f32_e32 v41, v22, v4
	v_mul_f32_e32 v35, v35, v12
	v_mul_f32_e32 v0, v31, v6
	v_fma_f32 v20, v20, v1, -v21
	v_fma_f32 v21, v22, v5, -v23
	;; [unrolled: 1-line block ×3, first 2 shown]
	v_fmac_f32_e32 v43, v34, v12
	v_fma_f32 v23, v28, v3, -v29
	v_fma_f32 v28, v30, v7, -v0
	v_add_f32_e32 v0, v41, v42
	v_fma_f32 v12, v34, v13, -v35
	s_wait_dscnt 0x0
	v_dual_fmac_f32 v45, v30, v6 :: v_dual_add_f32 v2, v24, v40
	v_mul_f32_e32 v8, v19, v14
	v_fma_f32 v0, -0.5, v0, v24
	v_sub_f32_e32 v3, v20, v12
	v_sub_f32_e32 v5, v21, v22
	v_mul_f32_e32 v1, v17, v10
	s_delay_alu instid0(VALU_DEP_1) | instskip(NEXT) | instid1(VALU_DEP_4)
	v_fma_f32 v30, v16, v11, -v1
	v_dual_add_f32 v1, v2, v41 :: v_dual_fmamk_f32 v2, v3, 0xbf737871, v0
	v_dual_sub_f32 v4, v40, v41 :: v_dual_mul_f32 v29, v17, v11
	v_sub_f32_e32 v6, v43, v42
	v_fmac_f32_e32 v0, 0x3f737871, v3
	s_delay_alu instid0(VALU_DEP_4) | instskip(NEXT) | instid1(VALU_DEP_3)
	v_dual_fmac_f32 v2, 0xbf167918, v5 :: v_dual_add_f32 v7, v40, v43
	v_add_f32_e32 v9, v4, v6
	v_mul_f32_e32 v13, v19, v15
	v_fma_f32 v15, v18, v15, -v8
	s_delay_alu instid0(VALU_DEP_4) | instskip(NEXT) | instid1(VALU_DEP_4)
	v_fma_f32 v4, -0.5, v7, v24
	v_dual_sub_f32 v7, v42, v43 :: v_dual_fmac_f32 v2, 0x3e9e377a, v9
	s_delay_alu instid0(VALU_DEP_4) | instskip(NEXT) | instid1(VALU_DEP_3)
	v_dual_fmac_f32 v13, v18, v14 :: v_dual_sub_f32 v14, v20, v21
	v_fmamk_f32 v8, v5, 0x3f737871, v4
	v_sub_f32_e32 v18, v28, v30
	v_sub_f32_e32 v24, v30, v15
	s_delay_alu instid0(VALU_DEP_3) | instskip(SKIP_3) | instid1(VALU_DEP_4)
	v_dual_fmac_f32 v8, 0xbf167918, v3 :: v_dual_add_f32 v1, v1, v42
	v_dual_fmac_f32 v4, 0xbf737871, v5 :: v_dual_fmac_f32 v29, v16, v10
	v_add_f32_e32 v10, v25, v20
	v_fmac_f32_e32 v0, 0x3f167918, v5
	v_add_f32_e32 v6, v1, v43
	s_delay_alu instid0(VALU_DEP_4) | instskip(NEXT) | instid1(VALU_DEP_4)
	v_dual_sub_f32 v1, v41, v40 :: v_dual_fmac_f32 v4, 0x3f167918, v3
	v_add_f32_e32 v5, v10, v21
	s_delay_alu instid0(VALU_DEP_4) | instskip(SKIP_1) | instid1(VALU_DEP_4)
	v_fmac_f32_e32 v0, 0x3e9e377a, v9
	v_sub_f32_e32 v10, v41, v42
	v_add_f32_e32 v7, v1, v7
	v_add_f32_e32 v11, v21, v22
	;; [unrolled: 1-line block ×3, first 2 shown]
	v_sub_f32_e32 v16, v12, v22
	s_delay_alu instid0(VALU_DEP_4) | instskip(NEXT) | instid1(VALU_DEP_4)
	v_dual_add_f32 v5, v20, v12 :: v_dual_fmac_f32 v8, 0x3e9e377a, v7
	v_fma_f32 v1, -0.5, v11, v25
	s_delay_alu instid0(VALU_DEP_4) | instskip(NEXT) | instid1(VALU_DEP_4)
	v_dual_fmac_f32 v4, 0x3e9e377a, v7 :: v_dual_add_f32 v7, v9, v12
	v_dual_sub_f32 v11, v40, v43 :: v_dual_add_f32 v14, v14, v16
	s_delay_alu instid0(VALU_DEP_4) | instskip(SKIP_1) | instid1(VALU_DEP_3)
	v_fma_f32 v5, -0.5, v5, v25
	v_sub_f32_e32 v16, v21, v20
	v_dual_sub_f32 v12, v22, v12 :: v_dual_fmamk_f32 v3, v11, 0x3f737871, v1
	v_fmac_f32_e32 v1, 0xbf737871, v11
	s_delay_alu instid0(VALU_DEP_4) | instskip(NEXT) | instid1(VALU_DEP_3)
	v_fmamk_f32 v9, v10, 0xbf737871, v5
	v_dual_add_f32 v17, v45, v29 :: v_dual_add_f32 v16, v16, v12
	s_delay_alu instid0(VALU_DEP_4) | instskip(SKIP_3) | instid1(VALU_DEP_4)
	v_fmac_f32_e32 v3, 0x3f167918, v10
	v_dual_fmac_f32 v5, 0x3f737871, v10 :: v_dual_add_f32 v12, v26, v44
	v_fmac_f32_e32 v1, 0xbf167918, v10
	v_dual_fmac_f32 v9, 0x3f167918, v11 :: v_dual_add_f32 v20, v44, v13
	v_fmac_f32_e32 v3, 0x3e9e377a, v14
	v_fma_f32 v10, -0.5, v17, v26
	v_sub_f32_e32 v17, v23, v15
	v_fmac_f32_e32 v5, 0xbf167918, v11
	v_add_f32_e32 v11, v12, v45
	v_fma_f32 v26, -0.5, v20, v26
	v_sub_f32_e32 v19, v13, v29
	v_fmamk_f32 v12, v17, 0xbf737871, v10
	v_fmac_f32_e32 v10, 0x3f737871, v17
	v_add_f32_e32 v11, v11, v29
	v_dual_fmac_f32 v1, 0x3e9e377a, v14 :: v_dual_sub_f32 v14, v44, v45
	s_delay_alu instid0(VALU_DEP_4) | instskip(NEXT) | instid1(VALU_DEP_4)
	v_fmac_f32_e32 v12, 0xbf167918, v18
	v_fmac_f32_e32 v10, 0x3f167918, v18
	v_dual_sub_f32 v20, v29, v13 :: v_dual_fmac_f32 v5, 0x3e9e377a, v16
	s_delay_alu instid0(VALU_DEP_4)
	v_add_f32_e32 v19, v14, v19
	v_fmac_f32_e32 v9, 0x3e9e377a, v16
	v_fmamk_f32 v16, v18, 0x3f737871, v26
	v_fmac_f32_e32 v26, 0xbf737871, v18
	v_dual_add_f32 v14, v11, v13 :: v_dual_add_f32 v11, v28, v30
	v_add_f32_e32 v18, v27, v23
	s_delay_alu instid0(VALU_DEP_4) | instskip(NEXT) | instid1(VALU_DEP_4)
	v_fmac_f32_e32 v16, 0xbf167918, v17
	v_fmac_f32_e32 v26, 0x3f167918, v17
	;; [unrolled: 1-line block ×3, first 2 shown]
	v_dual_fmac_f32 v10, 0x3e9e377a, v19 :: v_dual_sub_f32 v19, v45, v44
	v_fma_f32 v11, -0.5, v11, v27
	v_dual_add_f32 v17, v18, v28 :: v_dual_add_f32 v18, v23, v15
	v_sub_f32_e32 v22, v15, v30
	s_delay_alu instid0(VALU_DEP_4) | instskip(SKIP_1) | instid1(VALU_DEP_4)
	v_dual_add_f32 v19, v19, v20 :: v_dual_sub_f32 v20, v45, v29
	v_sub_f32_e32 v21, v44, v13
	v_dual_fmac_f32 v27, -0.5, v18 :: v_dual_sub_f32 v18, v23, v28
	s_delay_alu instid0(VALU_DEP_3) | instskip(SKIP_1) | instid1(VALU_DEP_4)
	v_fmac_f32_e32 v16, 0x3e9e377a, v19
	v_fmac_f32_e32 v26, 0x3e9e377a, v19
	v_fmamk_f32 v13, v21, 0x3f737871, v11
	v_add_f32_e32 v19, v17, v30
	v_dual_fmac_f32 v11, 0xbf737871, v21 :: v_dual_add_f32 v18, v18, v22
	v_fmamk_f32 v17, v20, 0xbf737871, v27
	s_delay_alu instid0(VALU_DEP_4)
	v_fmac_f32_e32 v13, 0x3f167918, v20
	v_sub_f32_e32 v23, v28, v23
	v_fmac_f32_e32 v27, 0x3f737871, v20
	v_fmac_f32_e32 v11, 0xbf167918, v20
	;; [unrolled: 1-line block ×3, first 2 shown]
	v_add_f32_e32 v15, v19, v15
	s_delay_alu instid0(VALU_DEP_4) | instskip(SKIP_2) | instid1(VALU_DEP_3)
	v_dual_add_f32 v20, v23, v24 :: v_dual_fmac_f32 v27, 0xbf167918, v21
	v_fmac_f32_e32 v13, 0x3e9e377a, v18
	v_fmac_f32_e32 v11, 0x3e9e377a, v18
	;; [unrolled: 1-line block ×3, first 2 shown]
	s_delay_alu instid0(VALU_DEP_4)
	v_fmac_f32_e32 v27, 0x3e9e377a, v20
	ds_store_b64 v80, v[2:3] offset:2816
	ds_store_b64 v80, v[8:9] offset:5632
	;; [unrolled: 1-line block ×4, first 2 shown]
	ds_store_2addr_b64 v80, v[6:7], v[14:15] offset1:176
	ds_store_b64 v80, v[12:13] offset:4224
	ds_store_b64 v80, v[16:17] offset:7040
	;; [unrolled: 1-line block ×4, first 2 shown]
	global_wb scope:SCOPE_SE
	s_wait_dscnt 0x0
	s_barrier_signal -1
	s_barrier_wait -1
	global_inv scope:SCOPE_SE
	ds_load_2addr_b64 v[0:3], v80 offset1:176
	v_mad_co_u64_u32 v[20:21], null, s6, v56, 0
	s_wait_dscnt 0x0
	v_mul_f32_e32 v4, v76, v1
	v_mul_f32_e32 v28, v68, v3
	s_delay_alu instid0(VALU_DEP_2) | instskip(SKIP_1) | instid1(VALU_DEP_3)
	v_fmac_f32_e32 v4, v75, v0
	v_mul_f32_e32 v0, v76, v0
	v_fmac_f32_e32 v28, v67, v2
	v_mul_f32_e32 v2, v68, v2
	s_delay_alu instid0(VALU_DEP_4) | instskip(NEXT) | instid1(VALU_DEP_4)
	v_cvt_f64_f32_e32 v[16:17], v4
	v_fma_f32 v18, v75, v1, -v0
	ds_load_2addr_b64 v[4:7], v37 offset0:64 offset1:240
	ds_load_2addr_b64 v[8:11], v38 offset0:32 offset1:208
	;; [unrolled: 1-line block ×3, first 2 shown]
	v_fma_f32 v2, v67, v3, -v2
	v_cvt_f64_f32_e32 v[28:29], v28
	v_cvt_f64_f32_e32 v[22:23], v18
	s_delay_alu instid0(VALU_DEP_3)
	v_cvt_f64_f32_e32 v[2:3], v2
	s_wait_dscnt 0x2
	v_mul_f32_e32 v24, v72, v6
	s_wait_dscnt 0x0
	v_mul_f32_e32 v36, v64, v15
	v_dual_mul_f32 v30, v58, v9 :: v_dual_mul_f32 v19, v72, v7
	v_mul_f32_e32 v32, v66, v13
	v_mul_f32_e32 v34, v62, v11
	;; [unrolled: 1-line block ×3, first 2 shown]
	s_delay_alu instid0(VALU_DEP_4) | instskip(NEXT) | instid1(VALU_DEP_4)
	v_dual_fmac_f32 v30, v57, v8 :: v_dual_fmac_f32 v19, v71, v6
	v_dual_fmac_f32 v32, v65, v12 :: v_dual_mul_f32 v37, v64, v14
	v_mul_f32_e32 v40, v70, v5
	v_fmac_f32_e32 v34, v61, v10
	v_fma_f32 v33, v65, v13, -v33
	v_dual_fmac_f32 v36, v63, v14 :: v_dual_mul_f32 v41, v70, v4
	s_wait_alu 0xfffe
	v_mul_f64_e32 v[0:1], s[2:3], v[16:17]
	v_fma_f32 v16, v71, v7, -v24
	v_cvt_f64_f32_e32 v[24:25], v19
	v_fma_f32 v37, v63, v15, -v37
	v_fmac_f32_e32 v40, v69, v4
	v_fma_f32 v41, v69, v5, -v41
	v_mul_f64_e32 v[22:23], s[2:3], v[22:23]
	v_cvt_f64_f32_e32 v[26:27], v16
	ds_load_2addr_b64 v[16:19], v39 offset1:176
	v_mul_f32_e32 v31, v58, v8
	v_mad_co_u64_u32 v[6:7], null, s4, v79, 0
	v_mul_f64_e32 v[28:29], s[2:3], v[28:29]
	v_mul_f64_e32 v[2:3], s[2:3], v[2:3]
	s_wait_dscnt 0x0
	v_mul_f32_e32 v38, v60, v17
	v_fma_f32 v31, v57, v9, -v31
	v_mul_f32_e32 v35, v62, v10
	v_cvt_f64_f32_e32 v[8:9], v30
	s_delay_alu instid0(VALU_DEP_4) | instskip(NEXT) | instid1(VALU_DEP_4)
	v_dual_mul_f32 v43, v74, v18 :: v_dual_fmac_f32 v38, v59, v16
	v_cvt_f64_f32_e32 v[12:13], v31
	v_mul_f32_e32 v16, v60, v16
	v_fma_f32 v35, v61, v11, -v35
	v_cvt_f64_f32_e32 v[30:31], v32
	v_cvt_f64_f32_e32 v[32:33], v33
	v_fma_f32 v43, v73, v19, -v43
	v_fma_f32 v16, v59, v17, -v16
	v_cvt_f64_f32_e32 v[10:11], v34
	v_cvt_f64_f32_e32 v[14:15], v35
	v_cvt_f64_f32_e32 v[34:35], v36
	v_mad_co_u64_u32 v[44:45], null, s7, v56, v[21:22]
	v_mul_f32_e32 v42, v74, v19
	v_cvt_f64_f32_e32 v[36:37], v37
	v_cvt_f64_f32_e32 v[38:39], v38
	;; [unrolled: 1-line block ×4, first 2 shown]
	v_mul_f64_e32 v[24:25], s[2:3], v[24:25]
	v_dual_mov_b32 v21, v44 :: v_dual_fmac_f32 v42, v73, v18
	v_cvt_f64_f32_e32 v[18:19], v41
	v_mul_f64_e32 v[26:27], s[2:3], v[26:27]
	v_cvt_f32_f64_e32 v0, v[0:1]
	s_delay_alu instid0(VALU_DEP_4) | instskip(SKIP_3) | instid1(VALU_DEP_4)
	v_lshlrev_b64_e32 v[20:21], 3, v[20:21]
	v_cvt_f64_f32_e32 v[40:41], v42
	v_cvt_f64_f32_e32 v[42:43], v43
	v_cvt_f32_f64_e32 v1, v[22:23]
	v_add_co_u32 v20, vcc_lo, s0, v20
	s_wait_alu 0xfffd
	v_add_co_ci_u32_e32 v21, vcc_lo, s1, v21, vcc_lo
	s_mul_u64 s[0:1], s[4:5], 0x1b80
	v_mad_co_u64_u32 v[45:46], null, s5, v79, v[7:8]
	v_mul_f64_e32 v[8:9], s[2:3], v[8:9]
	v_mul_f64_e32 v[12:13], s[2:3], v[12:13]
	;; [unrolled: 1-line block ×4, first 2 shown]
	v_mov_b32_e32 v7, v45
	v_mul_f64_e32 v[10:11], s[2:3], v[10:11]
	v_mul_f64_e32 v[14:15], s[2:3], v[14:15]
	v_mul_f64_e32 v[34:35], s[2:3], v[34:35]
	s_delay_alu instid0(VALU_DEP_4)
	v_lshlrev_b64_e32 v[6:7], 3, v[6:7]
	v_mul_f64_e32 v[36:37], s[2:3], v[36:37]
	v_mul_f64_e32 v[38:39], s[2:3], v[38:39]
	;; [unrolled: 1-line block ×4, first 2 shown]
	v_add_co_u32 v6, vcc_lo, v20, v6
	s_wait_alu 0xfffd
	v_add_co_ci_u32_e32 v7, vcc_lo, v21, v7, vcc_lo
	v_mul_f64_e32 v[18:19], s[2:3], v[18:19]
	v_cvt_f32_f64_e32 v20, v[24:25]
	v_cvt_f32_f64_e32 v21, v[26:27]
	v_mul_f64_e32 v[40:41], s[2:3], v[40:41]
	v_mul_f64_e32 v[42:43], s[2:3], v[42:43]
	v_cvt_f32_f64_e32 v24, v[28:29]
	v_cvt_f32_f64_e32 v25, v[2:3]
	s_wait_alu 0xfffe
	v_add_co_u32 v22, vcc_lo, v6, s0
	s_movk_i32 s2, 0xea00
	s_mov_b32 s3, -1
	s_wait_alu 0xfffd
	v_add_co_ci_u32_e32 v23, vcc_lo, s1, v7, vcc_lo
	s_wait_alu 0xfffe
	s_mul_u64 s[2:3], s[4:5], s[2:3]
	global_store_b64 v[6:7], v[0:1], off
	v_cvt_f32_f64_e32 v2, v[8:9]
	v_cvt_f32_f64_e32 v3, v[12:13]
	s_wait_alu 0xfffe
	v_add_co_u32 v8, vcc_lo, v22, s2
	v_cvt_f32_f64_e32 v12, v[30:31]
	v_cvt_f32_f64_e32 v13, v[32:33]
	s_wait_alu 0xfffd
	v_add_co_ci_u32_e32 v9, vcc_lo, s3, v23, vcc_lo
	v_cvt_f32_f64_e32 v10, v[10:11]
	v_cvt_f32_f64_e32 v11, v[14:15]
	;; [unrolled: 1-line block ×8, first 2 shown]
	v_add_co_u32 v18, vcc_lo, v8, s0
	v_cvt_f32_f64_e32 v16, v[40:41]
	v_cvt_f32_f64_e32 v17, v[42:43]
	s_wait_alu 0xfffd
	v_add_co_ci_u32_e32 v19, vcc_lo, s1, v9, vcc_lo
	v_add_co_u32 v28, vcc_lo, v18, s2
	global_store_b64 v[22:23], v[20:21], off
	s_wait_alu 0xfffd
	v_add_co_ci_u32_e32 v29, vcc_lo, s3, v19, vcc_lo
	v_add_co_u32 v0, vcc_lo, v28, s0
	global_store_b64 v[8:9], v[24:25], off
	;; [unrolled: 4-line block ×4, first 2 shown]
	s_wait_alu 0xfffd
	v_add_co_ci_u32_e32 v9, vcc_lo, s1, v7, vcc_lo
	v_add_co_u32 v2, vcc_lo, v8, s2
	s_wait_alu 0xfffd
	s_delay_alu instid0(VALU_DEP_2) | instskip(NEXT) | instid1(VALU_DEP_2)
	v_add_co_ci_u32_e32 v3, vcc_lo, s3, v9, vcc_lo
	v_add_co_u32 v12, vcc_lo, v2, s0
	s_wait_alu 0xfffd
	s_delay_alu instid0(VALU_DEP_2)
	v_add_co_ci_u32_e32 v13, vcc_lo, s1, v3, vcc_lo
	global_store_b64 v[0:1], v[10:11], off
	global_store_b64 v[6:7], v[14:15], off
	;; [unrolled: 1-line block ×5, first 2 shown]
.LBB0_10:
	s_nop 0
	s_sendmsg sendmsg(MSG_DEALLOC_VGPRS)
	s_endpgm
	.section	.rodata,"a",@progbits
	.p2align	6, 0x0
	.amdhsa_kernel bluestein_single_back_len1760_dim1_sp_op_CI_CI
		.amdhsa_group_segment_fixed_size 14080
		.amdhsa_private_segment_fixed_size 0
		.amdhsa_kernarg_size 104
		.amdhsa_user_sgpr_count 2
		.amdhsa_user_sgpr_dispatch_ptr 0
		.amdhsa_user_sgpr_queue_ptr 0
		.amdhsa_user_sgpr_kernarg_segment_ptr 1
		.amdhsa_user_sgpr_dispatch_id 0
		.amdhsa_user_sgpr_private_segment_size 0
		.amdhsa_wavefront_size32 1
		.amdhsa_uses_dynamic_stack 0
		.amdhsa_enable_private_segment 0
		.amdhsa_system_sgpr_workgroup_id_x 1
		.amdhsa_system_sgpr_workgroup_id_y 0
		.amdhsa_system_sgpr_workgroup_id_z 0
		.amdhsa_system_sgpr_workgroup_info 0
		.amdhsa_system_vgpr_workitem_id 0
		.amdhsa_next_free_vgpr 175
		.amdhsa_next_free_sgpr 20
		.amdhsa_reserve_vcc 1
		.amdhsa_float_round_mode_32 0
		.amdhsa_float_round_mode_16_64 0
		.amdhsa_float_denorm_mode_32 3
		.amdhsa_float_denorm_mode_16_64 3
		.amdhsa_fp16_overflow 0
		.amdhsa_workgroup_processor_mode 1
		.amdhsa_memory_ordered 1
		.amdhsa_forward_progress 0
		.amdhsa_round_robin_scheduling 0
		.amdhsa_exception_fp_ieee_invalid_op 0
		.amdhsa_exception_fp_denorm_src 0
		.amdhsa_exception_fp_ieee_div_zero 0
		.amdhsa_exception_fp_ieee_overflow 0
		.amdhsa_exception_fp_ieee_underflow 0
		.amdhsa_exception_fp_ieee_inexact 0
		.amdhsa_exception_int_div_zero 0
	.end_amdhsa_kernel
	.text
.Lfunc_end0:
	.size	bluestein_single_back_len1760_dim1_sp_op_CI_CI, .Lfunc_end0-bluestein_single_back_len1760_dim1_sp_op_CI_CI
                                        ; -- End function
	.section	.AMDGPU.csdata,"",@progbits
; Kernel info:
; codeLenInByte = 13960
; NumSgprs: 22
; NumVgprs: 175
; ScratchSize: 0
; MemoryBound: 0
; FloatMode: 240
; IeeeMode: 1
; LDSByteSize: 14080 bytes/workgroup (compile time only)
; SGPRBlocks: 2
; VGPRBlocks: 21
; NumSGPRsForWavesPerEU: 22
; NumVGPRsForWavesPerEU: 175
; Occupancy: 8
; WaveLimiterHint : 1
; COMPUTE_PGM_RSRC2:SCRATCH_EN: 0
; COMPUTE_PGM_RSRC2:USER_SGPR: 2
; COMPUTE_PGM_RSRC2:TRAP_HANDLER: 0
; COMPUTE_PGM_RSRC2:TGID_X_EN: 1
; COMPUTE_PGM_RSRC2:TGID_Y_EN: 0
; COMPUTE_PGM_RSRC2:TGID_Z_EN: 0
; COMPUTE_PGM_RSRC2:TIDIG_COMP_CNT: 0
	.text
	.p2alignl 7, 3214868480
	.fill 96, 4, 3214868480
	.type	__hip_cuid_fd50dfaa0c6bd9eb,@object ; @__hip_cuid_fd50dfaa0c6bd9eb
	.section	.bss,"aw",@nobits
	.globl	__hip_cuid_fd50dfaa0c6bd9eb
__hip_cuid_fd50dfaa0c6bd9eb:
	.byte	0                               ; 0x0
	.size	__hip_cuid_fd50dfaa0c6bd9eb, 1

	.ident	"AMD clang version 19.0.0git (https://github.com/RadeonOpenCompute/llvm-project roc-6.4.0 25133 c7fe45cf4b819c5991fe208aaa96edf142730f1d)"
	.section	".note.GNU-stack","",@progbits
	.addrsig
	.addrsig_sym __hip_cuid_fd50dfaa0c6bd9eb
	.amdgpu_metadata
---
amdhsa.kernels:
  - .args:
      - .actual_access:  read_only
        .address_space:  global
        .offset:         0
        .size:           8
        .value_kind:     global_buffer
      - .actual_access:  read_only
        .address_space:  global
        .offset:         8
        .size:           8
        .value_kind:     global_buffer
      - .actual_access:  read_only
        .address_space:  global
        .offset:         16
        .size:           8
        .value_kind:     global_buffer
      - .actual_access:  read_only
        .address_space:  global
        .offset:         24
        .size:           8
        .value_kind:     global_buffer
      - .actual_access:  read_only
        .address_space:  global
        .offset:         32
        .size:           8
        .value_kind:     global_buffer
      - .offset:         40
        .size:           8
        .value_kind:     by_value
      - .address_space:  global
        .offset:         48
        .size:           8
        .value_kind:     global_buffer
      - .address_space:  global
        .offset:         56
        .size:           8
        .value_kind:     global_buffer
      - .address_space:  global
        .offset:         64
        .size:           8
        .value_kind:     global_buffer
      - .address_space:  global
        .offset:         72
        .size:           8
        .value_kind:     global_buffer
      - .offset:         80
        .size:           4
        .value_kind:     by_value
      - .address_space:  global
        .offset:         88
        .size:           8
        .value_kind:     global_buffer
      - .address_space:  global
        .offset:         96
        .size:           8
        .value_kind:     global_buffer
    .group_segment_fixed_size: 14080
    .kernarg_segment_align: 8
    .kernarg_segment_size: 104
    .language:       OpenCL C
    .language_version:
      - 2
      - 0
    .max_flat_workgroup_size: 176
    .name:           bluestein_single_back_len1760_dim1_sp_op_CI_CI
    .private_segment_fixed_size: 0
    .sgpr_count:     22
    .sgpr_spill_count: 0
    .symbol:         bluestein_single_back_len1760_dim1_sp_op_CI_CI.kd
    .uniform_work_group_size: 1
    .uses_dynamic_stack: false
    .vgpr_count:     175
    .vgpr_spill_count: 0
    .wavefront_size: 32
    .workgroup_processor_mode: 1
amdhsa.target:   amdgcn-amd-amdhsa--gfx1201
amdhsa.version:
  - 1
  - 2
...

	.end_amdgpu_metadata
